;; amdgpu-corpus repo=zjin-lcf/HeCBench kind=compiled arch=gfx90a opt=O3
	.text
	.amdgcn_target "amdgcn-amd-amdhsa--gfx90a"
	.amdhsa_code_object_version 6
	.section	.text._Z8distanceIfEvPKT_S2_iiS2_S2_PS0_,"axG",@progbits,_Z8distanceIfEvPKT_S2_iiS2_S2_PS0_,comdat
	.protected	_Z8distanceIfEvPKT_S2_iiS2_S2_PS0_ ; -- Begin function _Z8distanceIfEvPKT_S2_iiS2_S2_PS0_
	.globl	_Z8distanceIfEvPKT_S2_iiS2_S2_PS0_
	.p2align	8
	.type	_Z8distanceIfEvPKT_S2_iiS2_S2_PS0_,@function
_Z8distanceIfEvPKT_S2_iiS2_S2_PS0_:     ; @_Z8distanceIfEvPKT_S2_iiS2_S2_PS0_
; %bb.0:
	s_load_dwordx4 s[8:11], s[4:5], 0x0
	v_and_b32_e32 v3, 0x3ff, v0
	v_bfe_u32 v13, v0, 10, 10
	v_or_b32_e32 v0, v3, v13
	v_cmp_eq_u32_e64 s[0:1], 0, v0
	s_and_saveexec_b64 s[2:3], s[0:1]
	s_cbranch_execz .LBB0_2
; %bb.1:
	v_mov_b32_e32 v0, 0
	ds_write_b32 v0, v0 offset:1920
.LBB0_2:
	s_or_b64 exec, exec, s[2:3]
	v_lshl_add_u32 v0, s6, 7, v3
	v_ashrrev_i32_e32 v1, 31, v0
	v_lshlrev_b64 v[4:5], 2, v[0:1]
	s_waitcnt lgkmcnt(0)
	v_mov_b32_e32 v1, s9
	v_add_co_u32_e32 v8, vcc, s8, v4
	v_addc_co_u32_e32 v9, vcc, v1, v5, vcc
	global_load_dword v1, v[8:9], off
	global_load_dword v14, v[8:9], off offset:128
	global_load_dword v15, v[8:9], off offset:256
	;; [unrolled: 1-line block ×3, first 2 shown]
	s_load_dwordx2 s[8:9], s[4:5], 0x18
	v_lshl_add_u32 v2, s7, 5, v13
	v_cmp_eq_u32_e32 vcc, 0, v3
	v_lshlrev_b32_e32 v12, 2, v3
	v_ashrrev_i32_e32 v3, 31, v2
	v_lshlrev_b64 v[6:7], 2, v[2:3]
	v_mov_b32_e32 v11, s11
	v_add_co_u32_e64 v10, s[2:3], s10, v6
	v_addc_co_u32_e64 v11, s[2:3], v11, v7, s[2:3]
	s_waitcnt vmcnt(2)
	ds_write2_b32 v12, v1, v14 offset1:32
	s_waitcnt vmcnt(0)
	ds_write2_b32 v12, v15, v16 offset0:64 offset1:96
	v_lshlrev_b32_e32 v1, 2, v13
	s_and_saveexec_b64 s[2:3], vcc
	s_cbranch_execz .LBB0_4
; %bb.3:
	global_load_dword v3, v[10:11], off
	global_load_dword v13, v[10:11], off offset:32
	global_load_dword v14, v[10:11], off offset:64
	global_load_dword v15, v[10:11], off offset:96
	v_add_u32_e32 v16, 0x400, v1
	s_waitcnt vmcnt(2)
	ds_write2_b32 v16, v3, v13 offset0:128 offset1:136
	s_waitcnt vmcnt(0)
	ds_write2_b32 v16, v14, v15 offset0:144 offset1:152
.LBB0_4:
	s_or_b64 exec, exec, s[2:3]
	s_load_dwordx2 s[16:17], s[4:5], 0x10
	s_waitcnt lgkmcnt(0)
	s_ashr_i32 s3, s16, 31
	s_mov_b32 s2, s16
	s_lshl_b64 s[2:3], s[2:3], 2
	v_mov_b32_e32 v3, s3
	v_add_co_u32_e64 v8, s[2:3], s2, v8
	v_addc_co_u32_e64 v9, s[2:3], v9, v3, s[2:3]
	global_load_dword v3, v[8:9], off
	global_load_dword v13, v[8:9], off offset:128
	global_load_dword v14, v[8:9], off offset:256
	;; [unrolled: 1-line block ×3, first 2 shown]
	s_waitcnt vmcnt(2)
	ds_write2_b32 v12, v3, v13 offset0:128 offset1:160
	s_waitcnt vmcnt(0)
	ds_write2_b32 v12, v14, v15 offset0:192 offset1:224
	s_and_saveexec_b64 s[10:11], vcc
	s_cbranch_execz .LBB0_6
; %bb.5:
	s_ashr_i32 s3, s17, 31
	s_mov_b32 s2, s17
	s_lshl_b64 s[2:3], s[2:3], 2
	v_mov_b32_e32 v3, s3
	v_add_co_u32_e64 v8, s[2:3], s2, v10
	v_addc_co_u32_e64 v9, s[2:3], v11, v3, s[2:3]
	global_load_dword v3, v[8:9], off
	global_load_dword v10, v[8:9], off offset:32
	global_load_dword v11, v[8:9], off offset:64
	;; [unrolled: 1-line block ×3, first 2 shown]
	v_add_u32_e32 v8, 0x400, v1
	s_waitcnt vmcnt(2)
	ds_write2_b32 v8, v3, v10 offset0:160 offset1:168
	s_waitcnt vmcnt(0)
	ds_write2_b32 v8, v11, v13 offset0:176 offset1:184
.LBB0_6:
	s_or_b64 exec, exec, s[10:11]
	v_mov_b32_e32 v3, s9
	v_add_co_u32_e64 v4, s[2:3], s8, v4
	v_addc_co_u32_e64 v5, s[2:3], v3, v5, s[2:3]
	global_load_dword v8, v[4:5], off
	global_load_dword v9, v[4:5], off offset:128
	global_load_dword v10, v[4:5], off offset:256
	;; [unrolled: 1-line block ×3, first 2 shown]
	v_add_u32_e32 v3, 0x400, v12
	s_waitcnt vmcnt(2)
	ds_write2_b32 v3, v8, v9 offset1:32
	s_waitcnt vmcnt(0)
	ds_write2_b32 v3, v10, v11 offset0:64 offset1:96
	s_and_saveexec_b64 s[2:3], vcc
	s_cbranch_execz .LBB0_8
; %bb.7:
	s_load_dwordx2 s[8:9], s[4:5], 0x20
	s_waitcnt lgkmcnt(0)
	v_mov_b32_e32 v5, s9
	v_add_co_u32_e32 v4, vcc, s8, v6
	v_addc_co_u32_e32 v5, vcc, v5, v7, vcc
	global_load_dword v6, v[4:5], off
	global_load_dword v7, v[4:5], off offset:32
	global_load_dword v8, v[4:5], off offset:64
	;; [unrolled: 1-line block ×3, first 2 shown]
	v_add_u32_e32 v4, 0x400, v1
	s_waitcnt vmcnt(2)
	ds_write2_b32 v4, v6, v7 offset0:192 offset1:200
	s_waitcnt vmcnt(0)
	ds_write2_b32 v4, v8, v9 offset0:208 offset1:216
.LBB0_8:
	s_or_b64 exec, exec, s[2:3]
	v_cmp_gt_i32_e64 s[12:13], s16, v0
	v_cmp_gt_i32_e64 s[2:3], s17, v2
	s_and_b64 s[10:11], s[12:13], s[2:3]
	v_mov_b32_e32 v4, 0
	s_waitcnt lgkmcnt(0)
	s_barrier
	s_and_saveexec_b64 s[8:9], s[10:11]
	s_cbranch_execz .LBB0_10
; %bb.9:
	ds_read2st64_b32 v[4:5], v12 offset1:2
	v_add_u32_e32 v6, 0x400, v1
	ds_read2_b32 v[6:7], v6 offset0:128 offset1:160
	ds_read_b32 v8, v3
	ds_read_b32 v9, v1 offset:1792
	s_waitcnt lgkmcnt(2)
	v_sub_f32_e32 v5, v5, v7
	v_sub_f32_e32 v4, v4, v6
	v_mul_f32_e32 v5, v5, v5
	v_fmac_f32_e32 v5, v4, v4
	s_waitcnt lgkmcnt(0)
	v_add_f32_e32 v4, v8, v9
	v_div_scale_f32 v6, s[10:11], v4, v4, -v5
	v_rcp_f32_e32 v7, v6
	s_mov_b32 s10, 0x3fb8aa3b
	v_fma_f32 v8, -v6, v7, 1.0
	v_fmac_f32_e32 v7, v8, v7
	v_div_scale_f32 v8, vcc, -v5, v4, -v5
	v_mul_f32_e32 v9, v8, v7
	v_fma_f32 v10, -v6, v9, v8
	v_fmac_f32_e32 v9, v10, v7
	v_fma_f32 v6, -v6, v9, v8
	v_div_fmas_f32 v6, v6, v7, v9
	v_div_fixup_f32 v4, v6, v4, -v5
	v_mul_f32_e32 v5, 0x3fb8aa3b, v4
	v_fma_f32 v6, v4, s10, -v5
	v_rndne_f32_e32 v7, v5
	v_fmac_f32_e32 v6, 0x32a5705f, v4
	v_sub_f32_e32 v5, v5, v7
	v_add_f32_e32 v5, v5, v6
	v_exp_f32_e32 v5, v5
	v_cvt_i32_f32_e32 v6, v7
	s_mov_b32 s10, 0xc2ce8ed0
	v_cmp_ngt_f32_e32 vcc, s10, v4
	s_mov_b32 s10, 0x42b17218
	v_ldexp_f32 v5, v5, v6
	v_cndmask_b32_e32 v5, 0, v5, vcc
	v_mov_b32_e32 v6, 0x7f800000
	v_cmp_nlt_f32_e32 vcc, s10, v4
	v_cndmask_b32_e32 v4, v6, v5, vcc
.LBB0_10:
	s_or_b64 exec, exec, s[8:9]
	v_add_u32_e32 v5, 8, v2
	v_cmp_gt_i32_e64 s[14:15], s17, v5
	s_and_b64 s[10:11], s[12:13], s[14:15]
	s_and_saveexec_b64 s[8:9], s[10:11]
	s_cbranch_execz .LBB0_12
; %bb.11:
	ds_read2st64_b32 v[6:7], v12 offset1:2
	v_add_u32_e32 v5, 0x400, v1
	ds_read2_b32 v[8:9], v5 offset0:136 offset1:168
	ds_read_b32 v5, v3
	ds_read_b32 v10, v1 offset:1824
	s_waitcnt lgkmcnt(2)
	v_sub_f32_e32 v7, v7, v9
	v_sub_f32_e32 v6, v6, v8
	v_mul_f32_e32 v7, v7, v7
	v_fmac_f32_e32 v7, v6, v6
	s_waitcnt lgkmcnt(0)
	v_add_f32_e32 v5, v5, v10
	v_div_scale_f32 v6, s[10:11], v5, v5, -v7
	v_rcp_f32_e32 v8, v6
	s_mov_b32 s10, 0x3fb8aa3b
	v_fma_f32 v9, -v6, v8, 1.0
	v_fmac_f32_e32 v8, v9, v8
	v_div_scale_f32 v9, vcc, -v7, v5, -v7
	v_mul_f32_e32 v10, v9, v8
	v_fma_f32 v11, -v6, v10, v9
	v_fmac_f32_e32 v10, v11, v8
	v_fma_f32 v6, -v6, v10, v9
	v_div_fmas_f32 v6, v6, v8, v10
	v_div_fixup_f32 v5, v6, v5, -v7
	v_mul_f32_e32 v6, 0x3fb8aa3b, v5
	v_fma_f32 v7, v5, s10, -v6
	v_rndne_f32_e32 v8, v6
	v_fmac_f32_e32 v7, 0x32a5705f, v5
	v_sub_f32_e32 v6, v6, v8
	v_add_f32_e32 v6, v6, v7
	v_exp_f32_e32 v6, v6
	v_cvt_i32_f32_e32 v7, v8
	s_mov_b32 s10, 0xc2ce8ed0
	v_cmp_ngt_f32_e32 vcc, s10, v5
	s_mov_b32 s10, 0x42b17218
	v_ldexp_f32 v6, v6, v7
	v_cndmask_b32_e32 v6, 0, v6, vcc
	v_mov_b32_e32 v7, 0x7f800000
	v_cmp_nlt_f32_e32 vcc, s10, v5
	v_cndmask_b32_e32 v5, v7, v6, vcc
	v_add_f32_e32 v4, v4, v5
.LBB0_12:
	s_or_b64 exec, exec, s[8:9]
	v_add_u32_e32 v5, 16, v2
	v_cmp_gt_i32_e64 s[8:9], s17, v5
	s_and_b64 s[18:19], s[12:13], s[8:9]
	s_and_saveexec_b64 s[10:11], s[18:19]
	s_cbranch_execz .LBB0_14
; %bb.13:
	ds_read2st64_b32 v[6:7], v12 offset1:2
	v_add_u32_e32 v5, 0x400, v1
	ds_read2_b32 v[8:9], v5 offset0:144 offset1:176
	ds_read_b32 v5, v3
	ds_read_b32 v10, v1 offset:1856
	s_waitcnt lgkmcnt(2)
	v_sub_f32_e32 v7, v7, v9
	v_sub_f32_e32 v6, v6, v8
	v_mul_f32_e32 v7, v7, v7
	v_fmac_f32_e32 v7, v6, v6
	s_waitcnt lgkmcnt(0)
	v_add_f32_e32 v5, v5, v10
	v_div_scale_f32 v6, s[18:19], v5, v5, -v7
	v_rcp_f32_e32 v8, v6
	s_mov_b32 s18, 0x3fb8aa3b
	v_fma_f32 v9, -v6, v8, 1.0
	v_fmac_f32_e32 v8, v9, v8
	v_div_scale_f32 v9, vcc, -v7, v5, -v7
	v_mul_f32_e32 v10, v9, v8
	v_fma_f32 v11, -v6, v10, v9
	v_fmac_f32_e32 v10, v11, v8
	v_fma_f32 v6, -v6, v10, v9
	v_div_fmas_f32 v6, v6, v8, v10
	v_div_fixup_f32 v5, v6, v5, -v7
	v_mul_f32_e32 v6, 0x3fb8aa3b, v5
	v_fma_f32 v7, v5, s18, -v6
	v_rndne_f32_e32 v8, v6
	v_fmac_f32_e32 v7, 0x32a5705f, v5
	v_sub_f32_e32 v6, v6, v8
	v_add_f32_e32 v6, v6, v7
	v_exp_f32_e32 v6, v6
	v_cvt_i32_f32_e32 v7, v8
	s_mov_b32 s18, 0xc2ce8ed0
	v_cmp_ngt_f32_e32 vcc, s18, v5
	s_mov_b32 s18, 0x42b17218
	v_ldexp_f32 v6, v6, v7
	v_cndmask_b32_e32 v6, 0, v6, vcc
	v_mov_b32_e32 v7, 0x7f800000
	v_cmp_nlt_f32_e32 vcc, s18, v5
	v_cndmask_b32_e32 v5, v7, v6, vcc
	v_add_f32_e32 v4, v4, v5
.LBB0_14:
	s_or_b64 exec, exec, s[10:11]
	v_add_u32_e32 v2, 24, v2
	v_cmp_gt_i32_e64 s[10:11], s17, v2
	s_and_b64 s[18:19], s[12:13], s[10:11]
	s_and_saveexec_b64 s[12:13], s[18:19]
	s_cbranch_execz .LBB0_16
; %bb.15:
	ds_read2st64_b32 v[6:7], v12 offset1:2
	v_add_u32_e32 v2, 0x400, v1
	ds_read2_b32 v[8:9], v2 offset0:152 offset1:184
	ds_read_b32 v2, v3
	ds_read_b32 v5, v1 offset:1888
	s_mov_b32 s17, 0x3fb8aa3b
	s_waitcnt lgkmcnt(2)
	v_sub_f32_e32 v7, v7, v9
	v_sub_f32_e32 v6, v6, v8
	v_mul_f32_e32 v7, v7, v7
	v_fmac_f32_e32 v7, v6, v6
	s_waitcnt lgkmcnt(0)
	v_add_f32_e32 v2, v2, v5
	v_div_scale_f32 v5, s[18:19], v2, v2, -v7
	v_rcp_f32_e32 v6, v5
	v_fma_f32 v8, -v5, v6, 1.0
	v_fmac_f32_e32 v6, v8, v6
	v_div_scale_f32 v8, vcc, -v7, v2, -v7
	v_mul_f32_e32 v9, v8, v6
	v_fma_f32 v10, -v5, v9, v8
	v_fmac_f32_e32 v9, v10, v6
	v_fma_f32 v5, -v5, v9, v8
	v_div_fmas_f32 v5, v5, v6, v9
	v_div_fixup_f32 v2, v5, v2, -v7
	v_mul_f32_e32 v5, 0x3fb8aa3b, v2
	v_fma_f32 v6, v2, s17, -v5
	v_rndne_f32_e32 v7, v5
	v_fmac_f32_e32 v6, 0x32a5705f, v2
	v_sub_f32_e32 v5, v5, v7
	v_add_f32_e32 v5, v5, v6
	v_exp_f32_e32 v5, v5
	v_cvt_i32_f32_e32 v6, v7
	s_mov_b32 s17, 0xc2ce8ed0
	v_cmp_ngt_f32_e32 vcc, s17, v2
	s_mov_b32 s17, 0x42b17218
	v_ldexp_f32 v5, v5, v6
	v_cndmask_b32_e32 v5, 0, v5, vcc
	v_mov_b32_e32 v6, 0x7f800000
	v_cmp_nlt_f32_e32 vcc, s17, v2
	v_cndmask_b32_e32 v2, v6, v5, vcc
	v_add_f32_e32 v4, v4, v2
.LBB0_16:
	s_or_b64 exec, exec, s[12:13]
	v_add_u32_e32 v2, 32, v0
	v_cmp_gt_i32_e64 s[12:13], s16, v2
	s_and_b64 s[20:21], s[12:13], s[2:3]
	s_and_saveexec_b64 s[18:19], s[20:21]
	s_cbranch_execnz .LBB0_39
; %bb.17:
	s_or_b64 exec, exec, s[18:19]
	s_and_b64 s[20:21], s[12:13], s[14:15]
	s_and_saveexec_b64 s[18:19], s[20:21]
	s_cbranch_execnz .LBB0_40
.LBB0_18:
	s_or_b64 exec, exec, s[18:19]
	s_and_b64 s[20:21], s[12:13], s[8:9]
	s_and_saveexec_b64 s[18:19], s[20:21]
	s_cbranch_execnz .LBB0_41
.LBB0_19:
	s_or_b64 exec, exec, s[18:19]
	s_and_b64 s[18:19], s[12:13], s[10:11]
	s_and_saveexec_b64 s[12:13], s[18:19]
	s_cbranch_execz .LBB0_21
.LBB0_20:
	ds_read2_b32 v[6:7], v12 offset0:32 offset1:160
	v_add_u32_e32 v2, 0x400, v1
	ds_read2_b32 v[8:9], v2 offset0:152 offset1:184
	ds_read_b32 v2, v3 offset:128
	ds_read_b32 v5, v1 offset:1888
	s_mov_b32 s17, 0x3fb8aa3b
	s_waitcnt lgkmcnt(2)
	v_sub_f32_e32 v7, v7, v9
	v_sub_f32_e32 v6, v6, v8
	v_mul_f32_e32 v7, v7, v7
	v_fmac_f32_e32 v7, v6, v6
	s_waitcnt lgkmcnt(0)
	v_add_f32_e32 v2, v2, v5
	v_div_scale_f32 v5, s[18:19], v2, v2, -v7
	v_rcp_f32_e32 v6, v5
	v_fma_f32 v8, -v5, v6, 1.0
	v_fmac_f32_e32 v6, v8, v6
	v_div_scale_f32 v8, vcc, -v7, v2, -v7
	v_mul_f32_e32 v9, v8, v6
	v_fma_f32 v10, -v5, v9, v8
	v_fmac_f32_e32 v9, v10, v6
	v_fma_f32 v5, -v5, v9, v8
	v_div_fmas_f32 v5, v5, v6, v9
	v_div_fixup_f32 v2, v5, v2, -v7
	v_mul_f32_e32 v5, 0x3fb8aa3b, v2
	v_fma_f32 v6, v2, s17, -v5
	v_rndne_f32_e32 v7, v5
	v_fmac_f32_e32 v6, 0x32a5705f, v2
	v_sub_f32_e32 v5, v5, v7
	v_add_f32_e32 v5, v5, v6
	v_exp_f32_e32 v5, v5
	v_cvt_i32_f32_e32 v6, v7
	s_mov_b32 s17, 0xc2ce8ed0
	v_cmp_ngt_f32_e32 vcc, s17, v2
	s_mov_b32 s17, 0x42b17218
	v_ldexp_f32 v5, v5, v6
	v_cndmask_b32_e32 v5, 0, v5, vcc
	v_mov_b32_e32 v6, 0x7f800000
	v_cmp_nlt_f32_e32 vcc, s17, v2
	v_cndmask_b32_e32 v2, v6, v5, vcc
	v_add_f32_e32 v4, v4, v2
.LBB0_21:
	s_or_b64 exec, exec, s[12:13]
	v_add_u32_e32 v2, 64, v0
	v_cmp_gt_i32_e64 s[12:13], s16, v2
	s_and_b64 s[20:21], s[12:13], s[2:3]
	s_and_saveexec_b64 s[18:19], s[20:21]
	s_cbranch_execnz .LBB0_42
; %bb.22:
	s_or_b64 exec, exec, s[18:19]
	s_and_b64 s[20:21], s[12:13], s[14:15]
	s_and_saveexec_b64 s[18:19], s[20:21]
	s_cbranch_execnz .LBB0_43
.LBB0_23:
	s_or_b64 exec, exec, s[18:19]
	s_and_b64 s[20:21], s[12:13], s[8:9]
	s_and_saveexec_b64 s[18:19], s[20:21]
	s_cbranch_execnz .LBB0_44
.LBB0_24:
	s_or_b64 exec, exec, s[18:19]
	s_and_b64 s[18:19], s[12:13], s[10:11]
	s_and_saveexec_b64 s[12:13], s[18:19]
	s_cbranch_execz .LBB0_26
.LBB0_25:
	ds_read2st64_b32 v[6:7], v12 offset0:1 offset1:3
	v_add_u32_e32 v2, 0x400, v1
	ds_read2_b32 v[8:9], v2 offset0:152 offset1:184
	ds_read_b32 v2, v3 offset:256
	ds_read_b32 v5, v1 offset:1888
	s_mov_b32 s17, 0x3fb8aa3b
	s_waitcnt lgkmcnt(2)
	v_sub_f32_e32 v7, v7, v9
	v_sub_f32_e32 v6, v6, v8
	v_mul_f32_e32 v7, v7, v7
	v_fmac_f32_e32 v7, v6, v6
	s_waitcnt lgkmcnt(0)
	v_add_f32_e32 v2, v2, v5
	v_div_scale_f32 v5, s[18:19], v2, v2, -v7
	v_rcp_f32_e32 v6, v5
	v_fma_f32 v8, -v5, v6, 1.0
	v_fmac_f32_e32 v6, v8, v6
	v_div_scale_f32 v8, vcc, -v7, v2, -v7
	v_mul_f32_e32 v9, v8, v6
	v_fma_f32 v10, -v5, v9, v8
	v_fmac_f32_e32 v9, v10, v6
	v_fma_f32 v5, -v5, v9, v8
	v_div_fmas_f32 v5, v5, v6, v9
	v_div_fixup_f32 v2, v5, v2, -v7
	v_mul_f32_e32 v5, 0x3fb8aa3b, v2
	v_fma_f32 v6, v2, s17, -v5
	v_rndne_f32_e32 v7, v5
	v_fmac_f32_e32 v6, 0x32a5705f, v2
	v_sub_f32_e32 v5, v5, v7
	v_add_f32_e32 v5, v5, v6
	v_exp_f32_e32 v5, v5
	v_cvt_i32_f32_e32 v6, v7
	s_mov_b32 s17, 0xc2ce8ed0
	v_cmp_ngt_f32_e32 vcc, s17, v2
	s_mov_b32 s17, 0x42b17218
	v_ldexp_f32 v5, v5, v6
	v_cndmask_b32_e32 v5, 0, v5, vcc
	v_mov_b32_e32 v6, 0x7f800000
	v_cmp_nlt_f32_e32 vcc, s17, v2
	v_cndmask_b32_e32 v2, v6, v5, vcc
	v_add_f32_e32 v4, v4, v2
.LBB0_26:
	s_or_b64 exec, exec, s[12:13]
	v_add_u32_e32 v0, 0x60, v0
	v_cmp_gt_i32_e64 s[12:13], s16, v0
	s_and_b64 s[16:17], s[12:13], s[2:3]
	s_and_saveexec_b64 s[2:3], s[16:17]
	s_cbranch_execnz .LBB0_45
; %bb.27:
	s_or_b64 exec, exec, s[2:3]
	s_and_b64 s[14:15], s[12:13], s[14:15]
	s_and_saveexec_b64 s[2:3], s[14:15]
	s_cbranch_execnz .LBB0_46
.LBB0_28:
	s_or_b64 exec, exec, s[2:3]
	s_and_b64 s[8:9], s[12:13], s[8:9]
	s_and_saveexec_b64 s[2:3], s[8:9]
	s_cbranch_execz .LBB0_30
.LBB0_29:
	ds_read2_b32 v[6:7], v12 offset0:96 offset1:224
	v_add_u32_e32 v0, 0x400, v1
	ds_read2_b32 v[8:9], v0 offset0:144 offset1:176
	ds_read_b32 v0, v3 offset:384
	ds_read_b32 v2, v1 offset:1856
	s_waitcnt lgkmcnt(2)
	v_sub_f32_e32 v5, v6, v8
	v_sub_f32_e32 v6, v7, v9
	v_mul_f32_e32 v6, v6, v6
	v_fmac_f32_e32 v6, v5, v5
	s_waitcnt lgkmcnt(0)
	v_add_f32_e32 v0, v0, v2
	v_div_scale_f32 v2, s[8:9], v0, v0, -v6
	v_rcp_f32_e32 v5, v2
	s_mov_b32 s8, 0x3fb8aa3b
	v_fma_f32 v7, -v2, v5, 1.0
	v_fmac_f32_e32 v5, v7, v5
	v_div_scale_f32 v7, vcc, -v6, v0, -v6
	v_mul_f32_e32 v8, v7, v5
	v_fma_f32 v9, -v2, v8, v7
	v_fmac_f32_e32 v8, v9, v5
	v_fma_f32 v2, -v2, v8, v7
	v_div_fmas_f32 v2, v2, v5, v8
	v_div_fixup_f32 v0, v2, v0, -v6
	v_mul_f32_e32 v2, 0x3fb8aa3b, v0
	v_fma_f32 v5, v0, s8, -v2
	v_rndne_f32_e32 v6, v2
	v_fmac_f32_e32 v5, 0x32a5705f, v0
	v_sub_f32_e32 v2, v2, v6
	v_add_f32_e32 v2, v2, v5
	v_exp_f32_e32 v2, v2
	v_cvt_i32_f32_e32 v5, v6
	s_mov_b32 s8, 0xc2ce8ed0
	v_cmp_ngt_f32_e32 vcc, s8, v0
	s_mov_b32 s8, 0x42b17218
	v_ldexp_f32 v2, v2, v5
	v_cndmask_b32_e32 v2, 0, v2, vcc
	v_mov_b32_e32 v5, 0x7f800000
	v_cmp_nlt_f32_e32 vcc, s8, v0
	v_cndmask_b32_e32 v0, v5, v2, vcc
	v_add_f32_e32 v4, v4, v0
.LBB0_30:
	s_or_b64 exec, exec, s[2:3]
	s_load_dwordx2 s[2:3], s[4:5], 0x28
	s_and_b64 s[10:11], s[12:13], s[10:11]
	s_and_saveexec_b64 s[8:9], s[10:11]
	s_cbranch_execz .LBB0_32
; %bb.31:
	ds_read2_b32 v[6:7], v12 offset0:96 offset1:224
	v_add_u32_e32 v0, 0x400, v1
	ds_read2_b32 v[8:9], v0 offset0:152 offset1:184
	ds_read_b32 v0, v3 offset:384
	ds_read_b32 v1, v1 offset:1888
	s_waitcnt lgkmcnt(0)
	v_sub_f32_e32 v3, v7, v9
	v_sub_f32_e32 v2, v6, v8
	v_mul_f32_e32 v3, v3, v3
	v_fmac_f32_e32 v3, v2, v2
	v_add_f32_e32 v0, v0, v1
	v_div_scale_f32 v1, s[10:11], v0, v0, -v3
	v_rcp_f32_e32 v2, v1
	s_mov_b32 s10, 0x3fb8aa3b
	v_fma_f32 v5, -v1, v2, 1.0
	v_fmac_f32_e32 v2, v5, v2
	v_div_scale_f32 v5, vcc, -v3, v0, -v3
	v_mul_f32_e32 v6, v5, v2
	v_fma_f32 v7, -v1, v6, v5
	v_fmac_f32_e32 v6, v7, v2
	v_fma_f32 v1, -v1, v6, v5
	v_div_fmas_f32 v1, v1, v2, v6
	v_div_fixup_f32 v0, v1, v0, -v3
	v_mul_f32_e32 v1, 0x3fb8aa3b, v0
	v_fma_f32 v2, v0, s10, -v1
	v_rndne_f32_e32 v3, v1
	v_fmac_f32_e32 v2, 0x32a5705f, v0
	v_sub_f32_e32 v1, v1, v3
	v_add_f32_e32 v1, v1, v2
	v_exp_f32_e32 v1, v1
	v_cvt_i32_f32_e32 v2, v3
	s_mov_b32 s10, 0xc2ce8ed0
	v_cmp_ngt_f32_e32 vcc, s10, v0
	s_mov_b32 s10, 0x42b17218
	v_ldexp_f32 v1, v1, v2
	v_cndmask_b32_e32 v1, 0, v1, vcc
	v_mov_b32_e32 v2, 0x7f800000
	v_cmp_nlt_f32_e32 vcc, s10, v0
	v_cndmask_b32_e32 v0, v2, v1, vcc
	v_add_f32_e32 v4, v4, v0
.LBB0_32:
	s_or_b64 exec, exec, s[8:9]
	s_mov_b64 s[8:9], exec
	v_bfrev_b32_e32 v0, 1
.LBB0_33:                               ; =>This Inner Loop Header: Depth=1
	s_ff1_i32_b64 s10, s[8:9]
	v_readlane_b32 s12, v4, s10
	s_lshl_b64 s[10:11], 1, s10
	s_andn2_b64 s[8:9], s[8:9], s[10:11]
	s_cmp_lg_u64 s[8:9], 0
	v_add_f32_e32 v0, s12, v0
	s_cbranch_scc1 .LBB0_33
; %bb.34:
	v_mbcnt_lo_u32_b32 v1, exec_lo, 0
	v_mbcnt_hi_u32_b32 v1, exec_hi, v1
	v_cmp_eq_u32_e32 vcc, 0, v1
	s_and_saveexec_b64 s[8:9], vcc
	s_xor_b64 s[8:9], exec, s[8:9]
	s_cbranch_execz .LBB0_36
; %bb.35:
	v_mov_b32_e32 v1, 0
	ds_add_f32 v1, v0 offset:1920
.LBB0_36:
	s_or_b64 exec, exec, s[8:9]
	s_waitcnt lgkmcnt(0)
	s_barrier
	s_and_saveexec_b64 s[8:9], s[0:1]
	s_cbranch_execz .LBB0_38
; %bb.37:
	s_load_dword s0, s[4:5], 0x30
	v_mov_b32_e32 v0, 0
	ds_read_b32 v1, v0 offset:1920
	s_mov_b32 s1, 0
	s_waitcnt lgkmcnt(0)
	s_mul_i32 s0, s0, s7
	s_add_i32 s0, s0, s6
	s_lshl_b64 s[0:1], s[0:1], 2
	s_add_u32 s0, s2, s0
	s_addc_u32 s1, s3, s1
	global_store_dword v0, v1, s[0:1]
.LBB0_38:
	s_endpgm
.LBB0_39:
	ds_read2_b32 v[6:7], v12 offset0:32 offset1:160
	v_add_u32_e32 v2, 0x400, v1
	ds_read2_b32 v[8:9], v2 offset0:128 offset1:160
	ds_read_b32 v2, v3 offset:128
	ds_read_b32 v5, v1 offset:1792
	s_mov_b32 s17, 0x3fb8aa3b
	s_waitcnt lgkmcnt(2)
	v_sub_f32_e32 v7, v7, v9
	v_sub_f32_e32 v6, v6, v8
	v_mul_f32_e32 v7, v7, v7
	v_fmac_f32_e32 v7, v6, v6
	s_waitcnt lgkmcnt(0)
	v_add_f32_e32 v2, v2, v5
	v_div_scale_f32 v5, s[20:21], v2, v2, -v7
	v_rcp_f32_e32 v6, v5
	v_fma_f32 v8, -v5, v6, 1.0
	v_fmac_f32_e32 v6, v8, v6
	v_div_scale_f32 v8, vcc, -v7, v2, -v7
	v_mul_f32_e32 v9, v8, v6
	v_fma_f32 v10, -v5, v9, v8
	v_fmac_f32_e32 v9, v10, v6
	v_fma_f32 v5, -v5, v9, v8
	v_div_fmas_f32 v5, v5, v6, v9
	v_div_fixup_f32 v2, v5, v2, -v7
	v_mul_f32_e32 v5, 0x3fb8aa3b, v2
	v_fma_f32 v6, v2, s17, -v5
	v_rndne_f32_e32 v7, v5
	v_fmac_f32_e32 v6, 0x32a5705f, v2
	v_sub_f32_e32 v5, v5, v7
	v_add_f32_e32 v5, v5, v6
	v_exp_f32_e32 v5, v5
	v_cvt_i32_f32_e32 v6, v7
	s_mov_b32 s17, 0xc2ce8ed0
	v_cmp_ngt_f32_e32 vcc, s17, v2
	s_mov_b32 s17, 0x42b17218
	v_ldexp_f32 v5, v5, v6
	v_cndmask_b32_e32 v5, 0, v5, vcc
	v_mov_b32_e32 v6, 0x7f800000
	v_cmp_nlt_f32_e32 vcc, s17, v2
	v_cndmask_b32_e32 v2, v6, v5, vcc
	v_add_f32_e32 v4, v4, v2
	s_or_b64 exec, exec, s[18:19]
	s_and_b64 s[20:21], s[12:13], s[14:15]
	s_and_saveexec_b64 s[18:19], s[20:21]
	s_cbranch_execz .LBB0_18
.LBB0_40:
	ds_read2_b32 v[6:7], v12 offset0:32 offset1:160
	v_add_u32_e32 v2, 0x400, v1
	ds_read2_b32 v[8:9], v2 offset0:136 offset1:168
	ds_read_b32 v2, v3 offset:128
	ds_read_b32 v5, v1 offset:1824
	s_mov_b32 s17, 0x3fb8aa3b
	s_waitcnt lgkmcnt(2)
	v_sub_f32_e32 v7, v7, v9
	v_sub_f32_e32 v6, v6, v8
	v_mul_f32_e32 v7, v7, v7
	v_fmac_f32_e32 v7, v6, v6
	s_waitcnt lgkmcnt(0)
	v_add_f32_e32 v2, v2, v5
	v_div_scale_f32 v5, s[20:21], v2, v2, -v7
	v_rcp_f32_e32 v6, v5
	v_fma_f32 v8, -v5, v6, 1.0
	v_fmac_f32_e32 v6, v8, v6
	v_div_scale_f32 v8, vcc, -v7, v2, -v7
	v_mul_f32_e32 v9, v8, v6
	v_fma_f32 v10, -v5, v9, v8
	v_fmac_f32_e32 v9, v10, v6
	v_fma_f32 v5, -v5, v9, v8
	v_div_fmas_f32 v5, v5, v6, v9
	v_div_fixup_f32 v2, v5, v2, -v7
	v_mul_f32_e32 v5, 0x3fb8aa3b, v2
	v_fma_f32 v6, v2, s17, -v5
	v_rndne_f32_e32 v7, v5
	v_fmac_f32_e32 v6, 0x32a5705f, v2
	v_sub_f32_e32 v5, v5, v7
	v_add_f32_e32 v5, v5, v6
	v_exp_f32_e32 v5, v5
	v_cvt_i32_f32_e32 v6, v7
	s_mov_b32 s17, 0xc2ce8ed0
	v_cmp_ngt_f32_e32 vcc, s17, v2
	s_mov_b32 s17, 0x42b17218
	v_ldexp_f32 v5, v5, v6
	v_cndmask_b32_e32 v5, 0, v5, vcc
	v_mov_b32_e32 v6, 0x7f800000
	v_cmp_nlt_f32_e32 vcc, s17, v2
	v_cndmask_b32_e32 v2, v6, v5, vcc
	v_add_f32_e32 v4, v4, v2
	s_or_b64 exec, exec, s[18:19]
	s_and_b64 s[20:21], s[12:13], s[8:9]
	s_and_saveexec_b64 s[18:19], s[20:21]
	s_cbranch_execz .LBB0_19
.LBB0_41:
	ds_read2_b32 v[6:7], v12 offset0:32 offset1:160
	v_add_u32_e32 v2, 0x400, v1
	ds_read2_b32 v[8:9], v2 offset0:144 offset1:176
	ds_read_b32 v2, v3 offset:128
	ds_read_b32 v5, v1 offset:1856
	s_mov_b32 s17, 0x3fb8aa3b
	s_waitcnt lgkmcnt(2)
	v_sub_f32_e32 v7, v7, v9
	v_sub_f32_e32 v6, v6, v8
	v_mul_f32_e32 v7, v7, v7
	v_fmac_f32_e32 v7, v6, v6
	s_waitcnt lgkmcnt(0)
	v_add_f32_e32 v2, v2, v5
	v_div_scale_f32 v5, s[20:21], v2, v2, -v7
	v_rcp_f32_e32 v6, v5
	v_fma_f32 v8, -v5, v6, 1.0
	v_fmac_f32_e32 v6, v8, v6
	v_div_scale_f32 v8, vcc, -v7, v2, -v7
	v_mul_f32_e32 v9, v8, v6
	v_fma_f32 v10, -v5, v9, v8
	v_fmac_f32_e32 v9, v10, v6
	v_fma_f32 v5, -v5, v9, v8
	v_div_fmas_f32 v5, v5, v6, v9
	v_div_fixup_f32 v2, v5, v2, -v7
	v_mul_f32_e32 v5, 0x3fb8aa3b, v2
	v_fma_f32 v6, v2, s17, -v5
	v_rndne_f32_e32 v7, v5
	v_fmac_f32_e32 v6, 0x32a5705f, v2
	v_sub_f32_e32 v5, v5, v7
	v_add_f32_e32 v5, v5, v6
	v_exp_f32_e32 v5, v5
	v_cvt_i32_f32_e32 v6, v7
	s_mov_b32 s17, 0xc2ce8ed0
	v_cmp_ngt_f32_e32 vcc, s17, v2
	s_mov_b32 s17, 0x42b17218
	v_ldexp_f32 v5, v5, v6
	v_cndmask_b32_e32 v5, 0, v5, vcc
	v_mov_b32_e32 v6, 0x7f800000
	v_cmp_nlt_f32_e32 vcc, s17, v2
	v_cndmask_b32_e32 v2, v6, v5, vcc
	v_add_f32_e32 v4, v4, v2
	s_or_b64 exec, exec, s[18:19]
	s_and_b64 s[18:19], s[12:13], s[10:11]
	s_and_saveexec_b64 s[12:13], s[18:19]
	s_cbranch_execnz .LBB0_20
	s_branch .LBB0_21
.LBB0_42:
	ds_read2st64_b32 v[6:7], v12 offset0:1 offset1:3
	v_add_u32_e32 v2, 0x400, v1
	ds_read2_b32 v[8:9], v2 offset0:128 offset1:160
	ds_read_b32 v2, v3 offset:256
	ds_read_b32 v5, v1 offset:1792
	s_mov_b32 s17, 0x3fb8aa3b
	s_waitcnt lgkmcnt(2)
	v_sub_f32_e32 v7, v7, v9
	v_sub_f32_e32 v6, v6, v8
	v_mul_f32_e32 v7, v7, v7
	v_fmac_f32_e32 v7, v6, v6
	s_waitcnt lgkmcnt(0)
	v_add_f32_e32 v2, v2, v5
	v_div_scale_f32 v5, s[20:21], v2, v2, -v7
	v_rcp_f32_e32 v6, v5
	v_fma_f32 v8, -v5, v6, 1.0
	v_fmac_f32_e32 v6, v8, v6
	v_div_scale_f32 v8, vcc, -v7, v2, -v7
	v_mul_f32_e32 v9, v8, v6
	v_fma_f32 v10, -v5, v9, v8
	v_fmac_f32_e32 v9, v10, v6
	v_fma_f32 v5, -v5, v9, v8
	v_div_fmas_f32 v5, v5, v6, v9
	v_div_fixup_f32 v2, v5, v2, -v7
	v_mul_f32_e32 v5, 0x3fb8aa3b, v2
	v_fma_f32 v6, v2, s17, -v5
	v_rndne_f32_e32 v7, v5
	v_fmac_f32_e32 v6, 0x32a5705f, v2
	v_sub_f32_e32 v5, v5, v7
	v_add_f32_e32 v5, v5, v6
	v_exp_f32_e32 v5, v5
	v_cvt_i32_f32_e32 v6, v7
	s_mov_b32 s17, 0xc2ce8ed0
	v_cmp_ngt_f32_e32 vcc, s17, v2
	s_mov_b32 s17, 0x42b17218
	v_ldexp_f32 v5, v5, v6
	v_cndmask_b32_e32 v5, 0, v5, vcc
	v_mov_b32_e32 v6, 0x7f800000
	v_cmp_nlt_f32_e32 vcc, s17, v2
	v_cndmask_b32_e32 v2, v6, v5, vcc
	v_add_f32_e32 v4, v4, v2
	s_or_b64 exec, exec, s[18:19]
	s_and_b64 s[20:21], s[12:13], s[14:15]
	s_and_saveexec_b64 s[18:19], s[20:21]
	s_cbranch_execz .LBB0_23
.LBB0_43:
	ds_read2st64_b32 v[6:7], v12 offset0:1 offset1:3
	v_add_u32_e32 v2, 0x400, v1
	ds_read2_b32 v[8:9], v2 offset0:136 offset1:168
	ds_read_b32 v2, v3 offset:256
	ds_read_b32 v5, v1 offset:1824
	s_mov_b32 s17, 0x3fb8aa3b
	s_waitcnt lgkmcnt(2)
	v_sub_f32_e32 v7, v7, v9
	v_sub_f32_e32 v6, v6, v8
	v_mul_f32_e32 v7, v7, v7
	v_fmac_f32_e32 v7, v6, v6
	s_waitcnt lgkmcnt(0)
	v_add_f32_e32 v2, v2, v5
	v_div_scale_f32 v5, s[20:21], v2, v2, -v7
	v_rcp_f32_e32 v6, v5
	v_fma_f32 v8, -v5, v6, 1.0
	v_fmac_f32_e32 v6, v8, v6
	v_div_scale_f32 v8, vcc, -v7, v2, -v7
	v_mul_f32_e32 v9, v8, v6
	v_fma_f32 v10, -v5, v9, v8
	v_fmac_f32_e32 v9, v10, v6
	v_fma_f32 v5, -v5, v9, v8
	v_div_fmas_f32 v5, v5, v6, v9
	v_div_fixup_f32 v2, v5, v2, -v7
	v_mul_f32_e32 v5, 0x3fb8aa3b, v2
	v_fma_f32 v6, v2, s17, -v5
	v_rndne_f32_e32 v7, v5
	v_fmac_f32_e32 v6, 0x32a5705f, v2
	v_sub_f32_e32 v5, v5, v7
	v_add_f32_e32 v5, v5, v6
	v_exp_f32_e32 v5, v5
	v_cvt_i32_f32_e32 v6, v7
	s_mov_b32 s17, 0xc2ce8ed0
	v_cmp_ngt_f32_e32 vcc, s17, v2
	s_mov_b32 s17, 0x42b17218
	v_ldexp_f32 v5, v5, v6
	v_cndmask_b32_e32 v5, 0, v5, vcc
	v_mov_b32_e32 v6, 0x7f800000
	v_cmp_nlt_f32_e32 vcc, s17, v2
	v_cndmask_b32_e32 v2, v6, v5, vcc
	v_add_f32_e32 v4, v4, v2
	s_or_b64 exec, exec, s[18:19]
	s_and_b64 s[20:21], s[12:13], s[8:9]
	s_and_saveexec_b64 s[18:19], s[20:21]
	s_cbranch_execz .LBB0_24
.LBB0_44:
	ds_read2st64_b32 v[6:7], v12 offset0:1 offset1:3
	v_add_u32_e32 v2, 0x400, v1
	ds_read2_b32 v[8:9], v2 offset0:144 offset1:176
	ds_read_b32 v2, v3 offset:256
	ds_read_b32 v5, v1 offset:1856
	s_mov_b32 s17, 0x3fb8aa3b
	s_waitcnt lgkmcnt(2)
	v_sub_f32_e32 v7, v7, v9
	v_sub_f32_e32 v6, v6, v8
	v_mul_f32_e32 v7, v7, v7
	v_fmac_f32_e32 v7, v6, v6
	s_waitcnt lgkmcnt(0)
	v_add_f32_e32 v2, v2, v5
	v_div_scale_f32 v5, s[20:21], v2, v2, -v7
	v_rcp_f32_e32 v6, v5
	v_fma_f32 v8, -v5, v6, 1.0
	v_fmac_f32_e32 v6, v8, v6
	v_div_scale_f32 v8, vcc, -v7, v2, -v7
	v_mul_f32_e32 v9, v8, v6
	v_fma_f32 v10, -v5, v9, v8
	v_fmac_f32_e32 v9, v10, v6
	v_fma_f32 v5, -v5, v9, v8
	v_div_fmas_f32 v5, v5, v6, v9
	v_div_fixup_f32 v2, v5, v2, -v7
	v_mul_f32_e32 v5, 0x3fb8aa3b, v2
	v_fma_f32 v6, v2, s17, -v5
	v_rndne_f32_e32 v7, v5
	v_fmac_f32_e32 v6, 0x32a5705f, v2
	v_sub_f32_e32 v5, v5, v7
	v_add_f32_e32 v5, v5, v6
	v_exp_f32_e32 v5, v5
	v_cvt_i32_f32_e32 v6, v7
	s_mov_b32 s17, 0xc2ce8ed0
	v_cmp_ngt_f32_e32 vcc, s17, v2
	s_mov_b32 s17, 0x42b17218
	v_ldexp_f32 v5, v5, v6
	v_cndmask_b32_e32 v5, 0, v5, vcc
	v_mov_b32_e32 v6, 0x7f800000
	v_cmp_nlt_f32_e32 vcc, s17, v2
	v_cndmask_b32_e32 v2, v6, v5, vcc
	v_add_f32_e32 v4, v4, v2
	s_or_b64 exec, exec, s[18:19]
	s_and_b64 s[18:19], s[12:13], s[10:11]
	s_and_saveexec_b64 s[12:13], s[18:19]
	s_cbranch_execnz .LBB0_25
	s_branch .LBB0_26
.LBB0_45:
	ds_read2_b32 v[6:7], v12 offset0:96 offset1:224
	v_add_u32_e32 v0, 0x400, v1
	ds_read2_b32 v[8:9], v0 offset0:128 offset1:160
	ds_read_b32 v0, v3 offset:384
	ds_read_b32 v2, v1 offset:1792
	s_waitcnt lgkmcnt(2)
	v_sub_f32_e32 v5, v6, v8
	v_sub_f32_e32 v6, v7, v9
	v_mul_f32_e32 v6, v6, v6
	v_fmac_f32_e32 v6, v5, v5
	s_waitcnt lgkmcnt(0)
	v_add_f32_e32 v0, v0, v2
	v_div_scale_f32 v2, s[16:17], v0, v0, -v6
	v_rcp_f32_e32 v5, v2
	s_mov_b32 s16, 0x3fb8aa3b
	v_fma_f32 v7, -v2, v5, 1.0
	v_fmac_f32_e32 v5, v7, v5
	v_div_scale_f32 v7, vcc, -v6, v0, -v6
	v_mul_f32_e32 v8, v7, v5
	v_fma_f32 v9, -v2, v8, v7
	v_fmac_f32_e32 v8, v9, v5
	v_fma_f32 v2, -v2, v8, v7
	v_div_fmas_f32 v2, v2, v5, v8
	v_div_fixup_f32 v0, v2, v0, -v6
	v_mul_f32_e32 v2, 0x3fb8aa3b, v0
	v_fma_f32 v5, v0, s16, -v2
	v_rndne_f32_e32 v6, v2
	v_fmac_f32_e32 v5, 0x32a5705f, v0
	v_sub_f32_e32 v2, v2, v6
	v_add_f32_e32 v2, v2, v5
	v_exp_f32_e32 v2, v2
	v_cvt_i32_f32_e32 v5, v6
	s_mov_b32 s16, 0xc2ce8ed0
	v_cmp_ngt_f32_e32 vcc, s16, v0
	s_mov_b32 s16, 0x42b17218
	v_ldexp_f32 v2, v2, v5
	v_cndmask_b32_e32 v2, 0, v2, vcc
	v_mov_b32_e32 v5, 0x7f800000
	v_cmp_nlt_f32_e32 vcc, s16, v0
	v_cndmask_b32_e32 v0, v5, v2, vcc
	v_add_f32_e32 v4, v4, v0
	s_or_b64 exec, exec, s[2:3]
	s_and_b64 s[14:15], s[12:13], s[14:15]
	s_and_saveexec_b64 s[2:3], s[14:15]
	s_cbranch_execz .LBB0_28
.LBB0_46:
	ds_read2_b32 v[6:7], v12 offset0:96 offset1:224
	v_add_u32_e32 v0, 0x400, v1
	ds_read2_b32 v[8:9], v0 offset0:136 offset1:168
	ds_read_b32 v0, v3 offset:384
	ds_read_b32 v2, v1 offset:1824
	s_waitcnt lgkmcnt(2)
	v_sub_f32_e32 v5, v6, v8
	v_sub_f32_e32 v6, v7, v9
	v_mul_f32_e32 v6, v6, v6
	v_fmac_f32_e32 v6, v5, v5
	s_waitcnt lgkmcnt(0)
	v_add_f32_e32 v0, v0, v2
	v_div_scale_f32 v2, s[14:15], v0, v0, -v6
	v_rcp_f32_e32 v5, v2
	s_mov_b32 s14, 0x3fb8aa3b
	v_fma_f32 v7, -v2, v5, 1.0
	v_fmac_f32_e32 v5, v7, v5
	v_div_scale_f32 v7, vcc, -v6, v0, -v6
	v_mul_f32_e32 v8, v7, v5
	v_fma_f32 v9, -v2, v8, v7
	v_fmac_f32_e32 v8, v9, v5
	v_fma_f32 v2, -v2, v8, v7
	v_div_fmas_f32 v2, v2, v5, v8
	v_div_fixup_f32 v0, v2, v0, -v6
	v_mul_f32_e32 v2, 0x3fb8aa3b, v0
	v_fma_f32 v5, v0, s14, -v2
	v_rndne_f32_e32 v6, v2
	v_fmac_f32_e32 v5, 0x32a5705f, v0
	v_sub_f32_e32 v2, v2, v6
	v_add_f32_e32 v2, v2, v5
	v_exp_f32_e32 v2, v2
	v_cvt_i32_f32_e32 v5, v6
	s_mov_b32 s14, 0xc2ce8ed0
	v_cmp_ngt_f32_e32 vcc, s14, v0
	s_mov_b32 s14, 0x42b17218
	v_ldexp_f32 v2, v2, v5
	v_cndmask_b32_e32 v2, 0, v2, vcc
	v_mov_b32_e32 v5, 0x7f800000
	v_cmp_nlt_f32_e32 vcc, s14, v0
	v_cndmask_b32_e32 v0, v5, v2, vcc
	v_add_f32_e32 v4, v4, v0
	s_or_b64 exec, exec, s[2:3]
	s_and_b64 s[8:9], s[12:13], s[8:9]
	s_and_saveexec_b64 s[2:3], s[8:9]
	s_cbranch_execnz .LBB0_29
	s_branch .LBB0_30
	.section	.rodata,"a",@progbits
	.p2align	6, 0x0
	.amdhsa_kernel _Z8distanceIfEvPKT_S2_iiS2_S2_PS0_
		.amdhsa_group_segment_fixed_size 1924
		.amdhsa_private_segment_fixed_size 0
		.amdhsa_kernarg_size 304
		.amdhsa_user_sgpr_count 6
		.amdhsa_user_sgpr_private_segment_buffer 1
		.amdhsa_user_sgpr_dispatch_ptr 0
		.amdhsa_user_sgpr_queue_ptr 0
		.amdhsa_user_sgpr_kernarg_segment_ptr 1
		.amdhsa_user_sgpr_dispatch_id 0
		.amdhsa_user_sgpr_flat_scratch_init 0
		.amdhsa_user_sgpr_kernarg_preload_length 0
		.amdhsa_user_sgpr_kernarg_preload_offset 0
		.amdhsa_user_sgpr_private_segment_size 0
		.amdhsa_uses_dynamic_stack 0
		.amdhsa_system_sgpr_private_segment_wavefront_offset 0
		.amdhsa_system_sgpr_workgroup_id_x 1
		.amdhsa_system_sgpr_workgroup_id_y 1
		.amdhsa_system_sgpr_workgroup_id_z 0
		.amdhsa_system_sgpr_workgroup_info 0
		.amdhsa_system_vgpr_workitem_id 1
		.amdhsa_next_free_vgpr 17
		.amdhsa_next_free_sgpr 22
		.amdhsa_accum_offset 20
		.amdhsa_reserve_vcc 1
		.amdhsa_reserve_flat_scratch 0
		.amdhsa_float_round_mode_32 0
		.amdhsa_float_round_mode_16_64 0
		.amdhsa_float_denorm_mode_32 3
		.amdhsa_float_denorm_mode_16_64 3
		.amdhsa_dx10_clamp 1
		.amdhsa_ieee_mode 1
		.amdhsa_fp16_overflow 0
		.amdhsa_tg_split 0
		.amdhsa_exception_fp_ieee_invalid_op 0
		.amdhsa_exception_fp_denorm_src 0
		.amdhsa_exception_fp_ieee_div_zero 0
		.amdhsa_exception_fp_ieee_overflow 0
		.amdhsa_exception_fp_ieee_underflow 0
		.amdhsa_exception_fp_ieee_inexact 0
		.amdhsa_exception_int_div_zero 0
	.end_amdhsa_kernel
	.section	.text._Z8distanceIfEvPKT_S2_iiS2_S2_PS0_,"axG",@progbits,_Z8distanceIfEvPKT_S2_iiS2_S2_PS0_,comdat
.Lfunc_end0:
	.size	_Z8distanceIfEvPKT_S2_iiS2_S2_PS0_, .Lfunc_end0-_Z8distanceIfEvPKT_S2_iiS2_S2_PS0_
                                        ; -- End function
	.section	.AMDGPU.csdata,"",@progbits
; Kernel info:
; codeLenInByte = 5248
; NumSgprs: 26
; NumVgprs: 17
; NumAgprs: 0
; TotalNumVgprs: 17
; ScratchSize: 0
; MemoryBound: 0
; FloatMode: 240
; IeeeMode: 1
; LDSByteSize: 1924 bytes/workgroup (compile time only)
; SGPRBlocks: 3
; VGPRBlocks: 2
; NumSGPRsForWavesPerEU: 26
; NumVGPRsForWavesPerEU: 17
; AccumOffset: 20
; Occupancy: 8
; WaveLimiterHint : 1
; COMPUTE_PGM_RSRC2:SCRATCH_EN: 0
; COMPUTE_PGM_RSRC2:USER_SGPR: 6
; COMPUTE_PGM_RSRC2:TRAP_HANDLER: 0
; COMPUTE_PGM_RSRC2:TGID_X_EN: 1
; COMPUTE_PGM_RSRC2:TGID_Y_EN: 1
; COMPUTE_PGM_RSRC2:TGID_Z_EN: 0
; COMPUTE_PGM_RSRC2:TIDIG_COMP_CNT: 1
; COMPUTE_PGM_RSRC3_GFX90A:ACCUM_OFFSET: 4
; COMPUTE_PGM_RSRC3_GFX90A:TG_SPLIT: 0
	.section	.text._Z17reduce_cross_termIfEvPT_PKS0_iii,"axG",@progbits,_Z17reduce_cross_termIfEvPT_PKS0_iii,comdat
	.protected	_Z17reduce_cross_termIfEvPT_PKS0_iii ; -- Begin function _Z17reduce_cross_termIfEvPT_PKS0_iii
	.globl	_Z17reduce_cross_termIfEvPT_PKS0_iii
	.p2align	8
	.type	_Z17reduce_cross_termIfEvPT_PKS0_iii,@function
_Z17reduce_cross_termIfEvPT_PKS0_iii:   ; @_Z17reduce_cross_termIfEvPT_PKS0_iii
; %bb.0:
	v_cmp_eq_u32_e64 s[0:1], 0, v0
	s_and_saveexec_b64 s[2:3], s[0:1]
	s_cbranch_execz .LBB1_2
; %bb.1:
	v_mov_b32_e32 v1, 0
	ds_write_b32 v1, v1
.LBB1_2:
	s_or_b64 exec, exec, s[2:3]
	s_load_dword s8, s[4:5], 0x18
	s_load_dwordx2 s[2:3], s[4:5], 0x0
	v_mov_b32_e32 v1, 0
	s_waitcnt lgkmcnt(0)
	s_barrier
	v_cmp_gt_i32_e32 vcc, s8, v0
	s_and_saveexec_b64 s[6:7], vcc
	s_cbranch_execz .LBB1_6
; %bb.3:
	s_load_dwordx2 s[4:5], s[4:5], 0x8
	v_lshlrev_b32_e32 v2, 2, v0
	v_mov_b32_e32 v1, 0
	s_waitcnt lgkmcnt(0)
	v_mov_b32_e32 v3, s5
	v_add_co_u32_e32 v2, vcc, s4, v2
	v_addc_co_u32_e32 v3, vcc, 0, v3, vcc
	s_mov_b64 s[4:5], 0
.LBB1_4:                                ; =>This Inner Loop Header: Depth=1
	global_load_dword v4, v[2:3], off
	v_add_co_u32_e32 v2, vcc, 0x400, v2
	v_add_u32_e32 v0, 0x100, v0
	v_addc_co_u32_e32 v3, vcc, 0, v3, vcc
	v_cmp_le_i32_e32 vcc, s8, v0
	s_or_b64 s[4:5], vcc, s[4:5]
	s_waitcnt vmcnt(0)
	v_add_f32_e32 v1, v1, v4
	s_andn2_b64 exec, exec, s[4:5]
	s_cbranch_execnz .LBB1_4
; %bb.5:
	s_or_b64 exec, exec, s[4:5]
.LBB1_6:
	s_or_b64 exec, exec, s[6:7]
	s_mov_b64 s[4:5], exec
	v_bfrev_b32_e32 v0, 1
.LBB1_7:                                ; =>This Inner Loop Header: Depth=1
	s_ff1_i32_b64 s6, s[4:5]
	v_readlane_b32 s8, v1, s6
	s_lshl_b64 s[6:7], 1, s6
	s_andn2_b64 s[4:5], s[4:5], s[6:7]
	s_cmp_lg_u64 s[4:5], 0
	v_add_f32_e32 v0, s8, v0
	s_cbranch_scc1 .LBB1_7
; %bb.8:
	v_mbcnt_lo_u32_b32 v1, exec_lo, 0
	v_mbcnt_hi_u32_b32 v1, exec_hi, v1
	v_cmp_eq_u32_e32 vcc, 0, v1
	s_and_saveexec_b64 s[4:5], vcc
	s_xor_b64 s[4:5], exec, s[4:5]
	s_cbranch_execz .LBB1_10
; %bb.9:
	v_mov_b32_e32 v1, 0
	ds_add_f32 v1, v0
.LBB1_10:
	s_or_b64 exec, exec, s[4:5]
	s_waitcnt lgkmcnt(0)
	s_barrier
	s_and_saveexec_b64 s[4:5], s[0:1]
	s_cbranch_execz .LBB1_12
; %bb.11:
	v_mov_b32_e32 v0, 0
	ds_read_b32 v1, v0
	s_waitcnt lgkmcnt(0)
	global_store_dword v0, v1, s[2:3]
.LBB1_12:
	s_endpgm
	.section	.rodata,"a",@progbits
	.p2align	6, 0x0
	.amdhsa_kernel _Z17reduce_cross_termIfEvPT_PKS0_iii
		.amdhsa_group_segment_fixed_size 4
		.amdhsa_private_segment_fixed_size 0
		.amdhsa_kernarg_size 28
		.amdhsa_user_sgpr_count 6
		.amdhsa_user_sgpr_private_segment_buffer 1
		.amdhsa_user_sgpr_dispatch_ptr 0
		.amdhsa_user_sgpr_queue_ptr 0
		.amdhsa_user_sgpr_kernarg_segment_ptr 1
		.amdhsa_user_sgpr_dispatch_id 0
		.amdhsa_user_sgpr_flat_scratch_init 0
		.amdhsa_user_sgpr_kernarg_preload_length 0
		.amdhsa_user_sgpr_kernarg_preload_offset 0
		.amdhsa_user_sgpr_private_segment_size 0
		.amdhsa_uses_dynamic_stack 0
		.amdhsa_system_sgpr_private_segment_wavefront_offset 0
		.amdhsa_system_sgpr_workgroup_id_x 1
		.amdhsa_system_sgpr_workgroup_id_y 0
		.amdhsa_system_sgpr_workgroup_id_z 0
		.amdhsa_system_sgpr_workgroup_info 0
		.amdhsa_system_vgpr_workitem_id 0
		.amdhsa_next_free_vgpr 5
		.amdhsa_next_free_sgpr 9
		.amdhsa_accum_offset 8
		.amdhsa_reserve_vcc 1
		.amdhsa_reserve_flat_scratch 0
		.amdhsa_float_round_mode_32 0
		.amdhsa_float_round_mode_16_64 0
		.amdhsa_float_denorm_mode_32 3
		.amdhsa_float_denorm_mode_16_64 3
		.amdhsa_dx10_clamp 1
		.amdhsa_ieee_mode 1
		.amdhsa_fp16_overflow 0
		.amdhsa_tg_split 0
		.amdhsa_exception_fp_ieee_invalid_op 0
		.amdhsa_exception_fp_denorm_src 0
		.amdhsa_exception_fp_ieee_div_zero 0
		.amdhsa_exception_fp_ieee_overflow 0
		.amdhsa_exception_fp_ieee_underflow 0
		.amdhsa_exception_fp_ieee_inexact 0
		.amdhsa_exception_int_div_zero 0
	.end_amdhsa_kernel
	.section	.text._Z17reduce_cross_termIfEvPT_PKS0_iii,"axG",@progbits,_Z17reduce_cross_termIfEvPT_PKS0_iii,comdat
.Lfunc_end1:
	.size	_Z17reduce_cross_termIfEvPT_PKS0_iii, .Lfunc_end1-_Z17reduce_cross_termIfEvPT_PKS0_iii
                                        ; -- End function
	.section	.AMDGPU.csdata,"",@progbits
; Kernel info:
; codeLenInByte = 300
; NumSgprs: 13
; NumVgprs: 5
; NumAgprs: 0
; TotalNumVgprs: 5
; ScratchSize: 0
; MemoryBound: 0
; FloatMode: 240
; IeeeMode: 1
; LDSByteSize: 4 bytes/workgroup (compile time only)
; SGPRBlocks: 1
; VGPRBlocks: 0
; NumSGPRsForWavesPerEU: 13
; NumVGPRsForWavesPerEU: 5
; AccumOffset: 8
; Occupancy: 8
; WaveLimiterHint : 0
; COMPUTE_PGM_RSRC2:SCRATCH_EN: 0
; COMPUTE_PGM_RSRC2:USER_SGPR: 6
; COMPUTE_PGM_RSRC2:TRAP_HANDLER: 0
; COMPUTE_PGM_RSRC2:TGID_X_EN: 1
; COMPUTE_PGM_RSRC2:TGID_Y_EN: 0
; COMPUTE_PGM_RSRC2:TGID_Z_EN: 0
; COMPUTE_PGM_RSRC2:TIDIG_COMP_CNT: 0
; COMPUTE_PGM_RSRC3_GFX90A:ACCUM_OFFSET: 1
; COMPUTE_PGM_RSRC3_GFX90A:TG_SPLIT: 0
	.section	.text._Z8distanceIdEvPKT_S2_iiS2_S2_PS0_,"axG",@progbits,_Z8distanceIdEvPKT_S2_iiS2_S2_PS0_,comdat
	.protected	_Z8distanceIdEvPKT_S2_iiS2_S2_PS0_ ; -- Begin function _Z8distanceIdEvPKT_S2_iiS2_S2_PS0_
	.globl	_Z8distanceIdEvPKT_S2_iiS2_S2_PS0_
	.p2align	8
	.type	_Z8distanceIdEvPKT_S2_iiS2_S2_PS0_,@function
_Z8distanceIdEvPKT_S2_iiS2_S2_PS0_:     ; @_Z8distanceIdEvPKT_S2_iiS2_S2_PS0_
; %bb.0:
	s_load_dwordx4 s[8:11], s[4:5], 0x0
	v_and_b32_e32 v5, 0x3ff, v0
	v_bfe_u32 v13, v0, 10, 10
	v_or_b32_e32 v0, v5, v13
	v_cmp_eq_u32_e64 s[0:1], 0, v0
	s_and_saveexec_b64 s[2:3], s[0:1]
	s_cbranch_execz .LBB2_2
; %bb.1:
	v_mov_b32_e32 v0, 0
	v_mov_b32_e32 v1, v0
	ds_write_b64 v0, v[0:1] offset:3840
.LBB2_2:
	s_or_b64 exec, exec, s[2:3]
	v_lshl_add_u32 v2, s6, 7, v5
	v_ashrrev_i32_e32 v3, 31, v2
	v_lshlrev_b64 v[0:1], 3, v[2:3]
	s_waitcnt lgkmcnt(0)
	v_mov_b32_e32 v3, s9
	v_add_co_u32_e32 v8, vcc, s8, v0
	v_addc_co_u32_e32 v9, vcc, v3, v1, vcc
	global_load_dwordx2 v[14:15], v[8:9], off
	global_load_dwordx2 v[16:17], v[8:9], off offset:256
	global_load_dwordx2 v[18:19], v[8:9], off offset:512
	;; [unrolled: 1-line block ×3, first 2 shown]
	s_load_dwordx2 s[8:9], s[4:5], 0x18
	v_lshl_add_u32 v4, s7, 5, v13
	v_cmp_eq_u32_e32 vcc, 0, v5
	v_lshlrev_b32_e32 v12, 3, v5
	v_ashrrev_i32_e32 v5, 31, v4
	v_lshlrev_b64 v[6:7], 3, v[4:5]
	v_mov_b32_e32 v3, s11
	v_add_co_u32_e64 v10, s[2:3], s10, v6
	v_addc_co_u32_e64 v11, s[2:3], v3, v7, s[2:3]
	v_lshlrev_b32_e32 v3, 3, v13
	s_waitcnt vmcnt(2)
	ds_write2_b64 v12, v[14:15], v[16:17] offset1:32
	s_waitcnt vmcnt(0)
	ds_write2_b64 v12, v[18:19], v[20:21] offset0:64 offset1:96
	s_and_saveexec_b64 s[2:3], vcc
	s_cbranch_execz .LBB2_4
; %bb.3:
	global_load_dwordx2 v[14:15], v[10:11], off
	global_load_dwordx2 v[16:17], v[10:11], off offset:64
	global_load_dwordx2 v[18:19], v[10:11], off offset:128
	global_load_dwordx2 v[20:21], v[10:11], off offset:192
	v_add_u32_e32 v5, 0x800, v3
	s_waitcnt vmcnt(2)
	ds_write2_b64 v5, v[14:15], v[16:17] offset0:128 offset1:136
	s_waitcnt vmcnt(0)
	ds_write2_b64 v5, v[18:19], v[20:21] offset0:144 offset1:152
.LBB2_4:
	s_or_b64 exec, exec, s[2:3]
	s_load_dwordx2 s[18:19], s[4:5], 0x10
	s_waitcnt lgkmcnt(0)
	s_ashr_i32 s3, s18, 31
	s_mov_b32 s2, s18
	s_lshl_b64 s[2:3], s[2:3], 3
	v_mov_b32_e32 v5, s3
	v_add_co_u32_e64 v8, s[2:3], s2, v8
	v_addc_co_u32_e64 v9, s[2:3], v9, v5, s[2:3]
	global_load_dwordx2 v[14:15], v[8:9], off
	global_load_dwordx2 v[16:17], v[8:9], off offset:256
	global_load_dwordx2 v[18:19], v[8:9], off offset:512
	;; [unrolled: 1-line block ×3, first 2 shown]
	s_waitcnt vmcnt(2)
	ds_write2_b64 v12, v[14:15], v[16:17] offset0:128 offset1:160
	s_waitcnt vmcnt(0)
	ds_write2_b64 v12, v[18:19], v[20:21] offset0:192 offset1:224
	s_and_saveexec_b64 s[10:11], vcc
	s_cbranch_execz .LBB2_6
; %bb.5:
	s_ashr_i32 s3, s19, 31
	s_mov_b32 s2, s19
	s_lshl_b64 s[2:3], s[2:3], 3
	v_mov_b32_e32 v5, s3
	v_add_co_u32_e64 v8, s[2:3], s2, v10
	v_addc_co_u32_e64 v9, s[2:3], v11, v5, s[2:3]
	global_load_dwordx2 v[10:11], v[8:9], off
	global_load_dwordx2 v[14:15], v[8:9], off offset:64
	global_load_dwordx2 v[16:17], v[8:9], off offset:128
	;; [unrolled: 1-line block ×3, first 2 shown]
	v_add_u32_e32 v5, 0x800, v3
	s_waitcnt vmcnt(2)
	ds_write2_b64 v5, v[10:11], v[14:15] offset0:160 offset1:168
	s_waitcnt vmcnt(0)
	ds_write2_b64 v5, v[16:17], v[18:19] offset0:176 offset1:184
.LBB2_6:
	s_or_b64 exec, exec, s[10:11]
	v_mov_b32_e32 v5, s9
	v_add_co_u32_e64 v0, s[2:3], s8, v0
	v_addc_co_u32_e64 v1, s[2:3], v5, v1, s[2:3]
	global_load_dwordx2 v[8:9], v[0:1], off
	global_load_dwordx2 v[10:11], v[0:1], off offset:256
	global_load_dwordx2 v[14:15], v[0:1], off offset:512
	;; [unrolled: 1-line block ×3, first 2 shown]
	v_add_u32_e32 v5, 0x800, v12
	s_waitcnt vmcnt(2)
	ds_write2_b64 v5, v[8:9], v[10:11] offset1:32
	s_waitcnt vmcnt(0)
	ds_write2_b64 v5, v[14:15], v[16:17] offset0:64 offset1:96
	s_and_saveexec_b64 s[2:3], vcc
	s_cbranch_execz .LBB2_8
; %bb.7:
	s_load_dwordx2 s[8:9], s[4:5], 0x20
	s_waitcnt lgkmcnt(0)
	v_mov_b32_e32 v1, s9
	v_add_co_u32_e32 v0, vcc, s8, v6
	v_addc_co_u32_e32 v1, vcc, v1, v7, vcc
	global_load_dwordx2 v[6:7], v[0:1], off
	global_load_dwordx2 v[8:9], v[0:1], off offset:64
	global_load_dwordx2 v[10:11], v[0:1], off offset:128
	;; [unrolled: 1-line block ×3, first 2 shown]
	v_add_u32_e32 v0, 0x800, v3
	s_waitcnt vmcnt(2)
	ds_write2_b64 v0, v[6:7], v[8:9] offset0:192 offset1:200
	s_waitcnt vmcnt(0)
	ds_write2_b64 v0, v[10:11], v[14:15] offset0:208 offset1:216
.LBB2_8:
	s_or_b64 exec, exec, s[2:3]
	v_cmp_gt_i32_e64 s[12:13], s18, v2
	v_cmp_gt_i32_e64 s[2:3], s19, v4
	s_and_b64 s[8:9], s[12:13], s[2:3]
	v_pk_mov_b32 v[0:1], 0, 0
	s_waitcnt lgkmcnt(0)
	s_barrier
	s_and_saveexec_b64 s[10:11], s[8:9]
	s_cbranch_execz .LBB2_10
; %bb.9:
	ds_read2st64_b64 v[6:9], v12 offset1:2
	v_add_u32_e32 v0, 0x800, v3
	ds_read2_b64 v[14:17], v0 offset0:128 offset1:160
	ds_read_b64 v[0:1], v5
	ds_read_b64 v[10:11], v3 offset:3584
	s_waitcnt lgkmcnt(2)
	v_add_f64 v[8:9], v[8:9], -v[16:17]
	v_add_f64 v[6:7], v[6:7], -v[14:15]
	v_mul_f64 v[8:9], v[8:9], v[8:9]
	v_fmac_f64_e32 v[8:9], v[6:7], v[6:7]
	s_waitcnt lgkmcnt(0)
	v_add_f64 v[0:1], v[0:1], v[10:11]
	v_div_scale_f64 v[6:7], s[8:9], v[0:1], v[0:1], -v[8:9]
	v_rcp_f64_e32 v[10:11], v[6:7]
	s_mov_b32 s8, 0x652b82fe
	s_mov_b32 s9, 0x3ff71547
	v_fma_f64 v[14:15], -v[6:7], v[10:11], 1.0
	v_fmac_f64_e32 v[10:11], v[10:11], v[14:15]
	v_fma_f64 v[14:15], -v[6:7], v[10:11], 1.0
	v_fmac_f64_e32 v[10:11], v[10:11], v[14:15]
	v_div_scale_f64 v[14:15], vcc, -v[8:9], v[0:1], -v[8:9]
	v_mul_f64 v[16:17], v[14:15], v[10:11]
	v_fma_f64 v[6:7], -v[6:7], v[16:17], v[14:15]
	v_mov_b32_e32 v14, 0x623fde64
	s_nop 0
	v_div_fmas_f64 v[6:7], v[6:7], v[10:11], v[16:17]
	v_div_fixup_f64 v[0:1], v[6:7], v[0:1], -v[8:9]
	v_mul_f64 v[6:7], v[0:1], s[8:9]
	s_mov_b32 s8, 0xfefa39ef
	v_rndne_f64_e32 v[6:7], v[6:7]
	s_mov_b32 s9, 0xbfe62e42
	v_fma_f64 v[8:9], s[8:9], v[6:7], v[0:1]
	s_mov_b32 s8, 0x3b39803f
	s_mov_b32 s9, 0xbc7abc9e
	v_fmac_f64_e32 v[8:9], s[8:9], v[6:7]
	s_mov_b32 s8, 0x6a5dcb37
	v_mov_b32_e32 v10, 0xfca7ab0c
	v_mov_b32_e32 v11, 0x3e928af3
	s_mov_b32 s9, 0x3e5ade15
	v_fmac_f64_e32 v[10:11], s[8:9], v[8:9]
	v_mov_b32_e32 v15, 0x3ec71dee
	v_fmac_f64_e32 v[14:15], v[8:9], v[10:11]
	v_mov_b32_e32 v10, 0x7c89e6b0
	v_mov_b32_e32 v11, 0x3efa0199
	v_fmac_f64_e32 v[10:11], v[8:9], v[14:15]
	v_mov_b32_e32 v14, 0x14761f6e
	;; [unrolled: 3-line block ×7, first 2 shown]
	v_mov_b32_e32 v11, 0x3fe00000
	v_fmac_f64_e32 v[10:11], v[8:9], v[14:15]
	s_mov_b32 s8, 0
	v_fma_f64 v[10:11], v[8:9], v[10:11], 1.0
	s_mov_b32 s9, 0x40900000
	v_fma_f64 v[8:9], v[8:9], v[10:11], 1.0
	v_cvt_i32_f64_e32 v6, v[6:7]
	v_cmp_nlt_f64_e32 vcc, s[8:9], v[0:1]
	s_mov_b32 s8, 0
	v_ldexp_f64 v[6:7], v[8:9], v6
	s_mov_b32 s9, 0xc090cc00
	v_add_f64 v[6:7], v[6:7], 0
	v_mov_b32_e32 v8, 0x7ff00000
	v_cmp_ngt_f64_e64 s[8:9], s[8:9], v[0:1]
	v_cndmask_b32_e32 v7, v8, v7, vcc
	s_and_b64 vcc, s[8:9], vcc
	v_cndmask_b32_e64 v1, 0, v7, s[8:9]
	v_cndmask_b32_e32 v0, 0, v6, vcc
.LBB2_10:
	s_or_b64 exec, exec, s[10:11]
	v_add_u32_e32 v6, 8, v4
	v_cmp_gt_i32_e64 s[14:15], s19, v6
	s_and_b64 s[8:9], s[12:13], s[14:15]
	s_and_saveexec_b64 s[10:11], s[8:9]
	s_cbranch_execz .LBB2_12
; %bb.11:
	ds_read2st64_b64 v[6:9], v12 offset1:2
	v_add_u32_e32 v10, 0x800, v3
	ds_read2_b64 v[14:17], v10 offset0:136 offset1:168
	ds_read_b64 v[10:11], v5
	ds_read_b64 v[18:19], v3 offset:3648
	s_waitcnt lgkmcnt(2)
	v_add_f64 v[8:9], v[8:9], -v[16:17]
	v_add_f64 v[6:7], v[6:7], -v[14:15]
	v_mul_f64 v[8:9], v[8:9], v[8:9]
	v_fmac_f64_e32 v[8:9], v[6:7], v[6:7]
	s_waitcnt lgkmcnt(0)
	v_add_f64 v[6:7], v[10:11], v[18:19]
	v_div_scale_f64 v[10:11], s[8:9], v[6:7], v[6:7], -v[8:9]
	v_rcp_f64_e32 v[14:15], v[10:11]
	s_mov_b32 s8, 0x652b82fe
	s_mov_b32 s9, 0x3ff71547
	v_fma_f64 v[16:17], -v[10:11], v[14:15], 1.0
	v_fmac_f64_e32 v[14:15], v[14:15], v[16:17]
	v_fma_f64 v[16:17], -v[10:11], v[14:15], 1.0
	v_fmac_f64_e32 v[14:15], v[14:15], v[16:17]
	v_div_scale_f64 v[16:17], vcc, -v[8:9], v[6:7], -v[8:9]
	v_mul_f64 v[18:19], v[16:17], v[14:15]
	v_fma_f64 v[10:11], -v[10:11], v[18:19], v[16:17]
	v_mov_b32_e32 v16, 0x623fde64
	s_nop 0
	v_div_fmas_f64 v[10:11], v[10:11], v[14:15], v[18:19]
	v_div_fixup_f64 v[6:7], v[10:11], v[6:7], -v[8:9]
	v_mul_f64 v[8:9], v[6:7], s[8:9]
	s_mov_b32 s8, 0xfefa39ef
	v_rndne_f64_e32 v[8:9], v[8:9]
	s_mov_b32 s9, 0xbfe62e42
	v_fma_f64 v[10:11], s[8:9], v[8:9], v[6:7]
	s_mov_b32 s8, 0x3b39803f
	s_mov_b32 s9, 0xbc7abc9e
	v_fmac_f64_e32 v[10:11], s[8:9], v[8:9]
	s_mov_b32 s8, 0x6a5dcb37
	v_mov_b32_e32 v14, 0xfca7ab0c
	v_mov_b32_e32 v15, 0x3e928af3
	s_mov_b32 s9, 0x3e5ade15
	v_fmac_f64_e32 v[14:15], s[8:9], v[10:11]
	v_mov_b32_e32 v17, 0x3ec71dee
	v_fmac_f64_e32 v[16:17], v[10:11], v[14:15]
	v_mov_b32_e32 v14, 0x7c89e6b0
	v_mov_b32_e32 v15, 0x3efa0199
	v_fmac_f64_e32 v[14:15], v[10:11], v[16:17]
	v_mov_b32_e32 v16, 0x14761f6e
	;; [unrolled: 3-line block ×7, first 2 shown]
	v_mov_b32_e32 v15, 0x3fe00000
	s_mov_b32 s8, 0
	v_fmac_f64_e32 v[14:15], v[10:11], v[16:17]
	s_mov_b32 s9, 0x40900000
	v_fma_f64 v[14:15], v[10:11], v[14:15], 1.0
	v_cmp_nlt_f64_e32 vcc, s[8:9], v[6:7]
	s_mov_b32 s8, 0
	v_fma_f64 v[10:11], v[10:11], v[14:15], 1.0
	v_cvt_i32_f64_e32 v8, v[8:9]
	s_mov_b32 s9, 0xc090cc00
	v_ldexp_f64 v[8:9], v[10:11], v8
	v_mov_b32_e32 v10, 0x7ff00000
	v_cmp_ngt_f64_e64 s[8:9], s[8:9], v[6:7]
	v_cndmask_b32_e32 v9, v10, v9, vcc
	s_and_b64 vcc, s[8:9], vcc
	v_cndmask_b32_e64 v7, 0, v9, s[8:9]
	v_cndmask_b32_e32 v6, 0, v8, vcc
	v_add_f64 v[0:1], v[0:1], v[6:7]
.LBB2_12:
	s_or_b64 exec, exec, s[10:11]
	v_add_u32_e32 v6, 16, v4
	v_cmp_gt_i32_e64 s[8:9], s19, v6
	s_and_b64 s[10:11], s[12:13], s[8:9]
	s_and_saveexec_b64 s[16:17], s[10:11]
	s_cbranch_execz .LBB2_14
; %bb.13:
	ds_read2st64_b64 v[6:9], v12 offset1:2
	v_add_u32_e32 v10, 0x800, v3
	ds_read2_b64 v[14:17], v10 offset0:144 offset1:176
	ds_read_b64 v[10:11], v5
	ds_read_b64 v[18:19], v3 offset:3712
	s_waitcnt lgkmcnt(2)
	v_add_f64 v[8:9], v[8:9], -v[16:17]
	v_add_f64 v[6:7], v[6:7], -v[14:15]
	v_mul_f64 v[8:9], v[8:9], v[8:9]
	v_fmac_f64_e32 v[8:9], v[6:7], v[6:7]
	s_waitcnt lgkmcnt(0)
	v_add_f64 v[6:7], v[10:11], v[18:19]
	v_div_scale_f64 v[10:11], s[10:11], v[6:7], v[6:7], -v[8:9]
	v_rcp_f64_e32 v[14:15], v[10:11]
	s_mov_b32 s10, 0x652b82fe
	s_mov_b32 s11, 0x3ff71547
	v_fma_f64 v[16:17], -v[10:11], v[14:15], 1.0
	v_fmac_f64_e32 v[14:15], v[14:15], v[16:17]
	v_fma_f64 v[16:17], -v[10:11], v[14:15], 1.0
	v_fmac_f64_e32 v[14:15], v[14:15], v[16:17]
	v_div_scale_f64 v[16:17], vcc, -v[8:9], v[6:7], -v[8:9]
	v_mul_f64 v[18:19], v[16:17], v[14:15]
	v_fma_f64 v[10:11], -v[10:11], v[18:19], v[16:17]
	v_mov_b32_e32 v16, 0x623fde64
	s_nop 0
	v_div_fmas_f64 v[10:11], v[10:11], v[14:15], v[18:19]
	v_div_fixup_f64 v[6:7], v[10:11], v[6:7], -v[8:9]
	v_mul_f64 v[8:9], v[6:7], s[10:11]
	s_mov_b32 s10, 0xfefa39ef
	v_rndne_f64_e32 v[8:9], v[8:9]
	s_mov_b32 s11, 0xbfe62e42
	v_fma_f64 v[10:11], s[10:11], v[8:9], v[6:7]
	s_mov_b32 s10, 0x3b39803f
	s_mov_b32 s11, 0xbc7abc9e
	v_fmac_f64_e32 v[10:11], s[10:11], v[8:9]
	s_mov_b32 s10, 0x6a5dcb37
	v_mov_b32_e32 v14, 0xfca7ab0c
	v_mov_b32_e32 v15, 0x3e928af3
	s_mov_b32 s11, 0x3e5ade15
	v_fmac_f64_e32 v[14:15], s[10:11], v[10:11]
	v_mov_b32_e32 v17, 0x3ec71dee
	v_fmac_f64_e32 v[16:17], v[10:11], v[14:15]
	v_mov_b32_e32 v14, 0x7c89e6b0
	v_mov_b32_e32 v15, 0x3efa0199
	v_fmac_f64_e32 v[14:15], v[10:11], v[16:17]
	v_mov_b32_e32 v16, 0x14761f6e
	;; [unrolled: 3-line block ×7, first 2 shown]
	v_mov_b32_e32 v15, 0x3fe00000
	s_mov_b32 s10, 0
	v_fmac_f64_e32 v[14:15], v[10:11], v[16:17]
	s_mov_b32 s11, 0x40900000
	v_fma_f64 v[14:15], v[10:11], v[14:15], 1.0
	v_cmp_nlt_f64_e32 vcc, s[10:11], v[6:7]
	s_mov_b32 s10, 0
	v_fma_f64 v[10:11], v[10:11], v[14:15], 1.0
	v_cvt_i32_f64_e32 v8, v[8:9]
	s_mov_b32 s11, 0xc090cc00
	v_ldexp_f64 v[8:9], v[10:11], v8
	v_mov_b32_e32 v10, 0x7ff00000
	v_cmp_ngt_f64_e64 s[10:11], s[10:11], v[6:7]
	v_cndmask_b32_e32 v9, v10, v9, vcc
	s_and_b64 vcc, s[10:11], vcc
	v_cndmask_b32_e64 v7, 0, v9, s[10:11]
	v_cndmask_b32_e32 v6, 0, v8, vcc
	v_add_f64 v[0:1], v[0:1], v[6:7]
.LBB2_14:
	s_or_b64 exec, exec, s[16:17]
	v_add_u32_e32 v4, 24, v4
	v_cmp_gt_i32_e64 s[10:11], s19, v4
	s_and_b64 s[12:13], s[12:13], s[10:11]
	s_and_saveexec_b64 s[16:17], s[12:13]
	s_cbranch_execz .LBB2_16
; %bb.15:
	ds_read2st64_b64 v[6:9], v12 offset1:2
	v_add_u32_e32 v4, 0x800, v3
	ds_read2_b64 v[14:17], v4 offset0:152 offset1:184
	ds_read_b64 v[10:11], v5
	ds_read_b64 v[18:19], v3 offset:3776
	s_waitcnt lgkmcnt(2)
	v_add_f64 v[8:9], v[8:9], -v[16:17]
	v_add_f64 v[6:7], v[6:7], -v[14:15]
	v_mul_f64 v[8:9], v[8:9], v[8:9]
	v_fmac_f64_e32 v[8:9], v[6:7], v[6:7]
	s_waitcnt lgkmcnt(0)
	v_add_f64 v[6:7], v[10:11], v[18:19]
	v_div_scale_f64 v[10:11], s[12:13], v[6:7], v[6:7], -v[8:9]
	v_rcp_f64_e32 v[14:15], v[10:11]
	s_mov_b32 s12, 0x652b82fe
	s_mov_b32 s13, 0x3ff71547
	v_fma_f64 v[16:17], -v[10:11], v[14:15], 1.0
	v_fmac_f64_e32 v[14:15], v[14:15], v[16:17]
	v_fma_f64 v[16:17], -v[10:11], v[14:15], 1.0
	v_fmac_f64_e32 v[14:15], v[14:15], v[16:17]
	v_div_scale_f64 v[16:17], vcc, -v[8:9], v[6:7], -v[8:9]
	v_mul_f64 v[18:19], v[16:17], v[14:15]
	v_fma_f64 v[10:11], -v[10:11], v[18:19], v[16:17]
	v_mov_b32_e32 v16, 0x623fde64
	s_nop 0
	v_div_fmas_f64 v[10:11], v[10:11], v[14:15], v[18:19]
	v_div_fixup_f64 v[6:7], v[10:11], v[6:7], -v[8:9]
	v_mul_f64 v[8:9], v[6:7], s[12:13]
	s_mov_b32 s12, 0xfefa39ef
	v_rndne_f64_e32 v[8:9], v[8:9]
	s_mov_b32 s13, 0xbfe62e42
	v_fma_f64 v[10:11], s[12:13], v[8:9], v[6:7]
	s_mov_b32 s12, 0x3b39803f
	s_mov_b32 s13, 0xbc7abc9e
	v_fmac_f64_e32 v[10:11], s[12:13], v[8:9]
	s_mov_b32 s12, 0x6a5dcb37
	v_mov_b32_e32 v14, 0xfca7ab0c
	v_mov_b32_e32 v15, 0x3e928af3
	s_mov_b32 s13, 0x3e5ade15
	v_fmac_f64_e32 v[14:15], s[12:13], v[10:11]
	v_mov_b32_e32 v17, 0x3ec71dee
	v_fmac_f64_e32 v[16:17], v[10:11], v[14:15]
	v_mov_b32_e32 v14, 0x7c89e6b0
	v_mov_b32_e32 v15, 0x3efa0199
	v_fmac_f64_e32 v[14:15], v[10:11], v[16:17]
	v_mov_b32_e32 v16, 0x14761f6e
	;; [unrolled: 3-line block ×7, first 2 shown]
	v_mov_b32_e32 v15, 0x3fe00000
	s_mov_b32 s12, 0
	v_fmac_f64_e32 v[14:15], v[10:11], v[16:17]
	s_mov_b32 s13, 0x40900000
	v_fma_f64 v[14:15], v[10:11], v[14:15], 1.0
	v_cmp_nlt_f64_e32 vcc, s[12:13], v[6:7]
	s_mov_b32 s12, 0
	v_fma_f64 v[10:11], v[10:11], v[14:15], 1.0
	v_cvt_i32_f64_e32 v4, v[8:9]
	s_mov_b32 s13, 0xc090cc00
	v_ldexp_f64 v[8:9], v[10:11], v4
	v_mov_b32_e32 v4, 0x7ff00000
	v_cmp_ngt_f64_e64 s[12:13], s[12:13], v[6:7]
	v_cndmask_b32_e32 v4, v4, v9, vcc
	s_and_b64 vcc, s[12:13], vcc
	v_cndmask_b32_e64 v7, 0, v4, s[12:13]
	v_cndmask_b32_e32 v6, 0, v8, vcc
	v_add_f64 v[0:1], v[0:1], v[6:7]
.LBB2_16:
	s_or_b64 exec, exec, s[16:17]
	v_add_u32_e32 v4, 32, v2
	v_cmp_gt_i32_e64 s[12:13], s18, v4
	s_and_b64 s[16:17], s[12:13], s[2:3]
	s_and_saveexec_b64 s[20:21], s[16:17]
	s_cbranch_execnz .LBB2_39
; %bb.17:
	s_or_b64 exec, exec, s[20:21]
	s_and_b64 s[16:17], s[12:13], s[14:15]
	s_and_saveexec_b64 s[20:21], s[16:17]
	s_cbranch_execnz .LBB2_40
.LBB2_18:
	s_or_b64 exec, exec, s[20:21]
	s_and_b64 s[16:17], s[12:13], s[8:9]
	s_and_saveexec_b64 s[20:21], s[16:17]
	s_cbranch_execnz .LBB2_41
.LBB2_19:
	s_or_b64 exec, exec, s[20:21]
	s_and_b64 s[12:13], s[12:13], s[10:11]
	s_and_saveexec_b64 s[16:17], s[12:13]
	s_cbranch_execz .LBB2_21
.LBB2_20:
	ds_read2_b64 v[6:9], v12 offset0:32 offset1:160
	v_add_u32_e32 v4, 0x800, v3
	ds_read2_b64 v[14:17], v4 offset0:152 offset1:184
	ds_read_b64 v[10:11], v5 offset:256
	ds_read_b64 v[18:19], v3 offset:3776
	s_waitcnt lgkmcnt(2)
	v_add_f64 v[8:9], v[8:9], -v[16:17]
	v_add_f64 v[6:7], v[6:7], -v[14:15]
	v_mul_f64 v[8:9], v[8:9], v[8:9]
	v_fmac_f64_e32 v[8:9], v[6:7], v[6:7]
	s_waitcnt lgkmcnt(0)
	v_add_f64 v[6:7], v[10:11], v[18:19]
	v_div_scale_f64 v[10:11], s[12:13], v[6:7], v[6:7], -v[8:9]
	v_rcp_f64_e32 v[14:15], v[10:11]
	s_mov_b32 s12, 0x652b82fe
	s_mov_b32 s13, 0x3ff71547
	v_fma_f64 v[16:17], -v[10:11], v[14:15], 1.0
	v_fmac_f64_e32 v[14:15], v[14:15], v[16:17]
	v_fma_f64 v[16:17], -v[10:11], v[14:15], 1.0
	v_fmac_f64_e32 v[14:15], v[14:15], v[16:17]
	v_div_scale_f64 v[16:17], vcc, -v[8:9], v[6:7], -v[8:9]
	v_mul_f64 v[18:19], v[16:17], v[14:15]
	v_fma_f64 v[10:11], -v[10:11], v[18:19], v[16:17]
	v_mov_b32_e32 v16, 0x623fde64
	s_nop 0
	v_div_fmas_f64 v[10:11], v[10:11], v[14:15], v[18:19]
	v_div_fixup_f64 v[6:7], v[10:11], v[6:7], -v[8:9]
	v_mul_f64 v[8:9], v[6:7], s[12:13]
	s_mov_b32 s12, 0xfefa39ef
	v_rndne_f64_e32 v[8:9], v[8:9]
	s_mov_b32 s13, 0xbfe62e42
	v_fma_f64 v[10:11], s[12:13], v[8:9], v[6:7]
	s_mov_b32 s12, 0x3b39803f
	s_mov_b32 s13, 0xbc7abc9e
	v_fmac_f64_e32 v[10:11], s[12:13], v[8:9]
	s_mov_b32 s12, 0x6a5dcb37
	v_mov_b32_e32 v14, 0xfca7ab0c
	v_mov_b32_e32 v15, 0x3e928af3
	s_mov_b32 s13, 0x3e5ade15
	v_fmac_f64_e32 v[14:15], s[12:13], v[10:11]
	v_mov_b32_e32 v17, 0x3ec71dee
	v_fmac_f64_e32 v[16:17], v[10:11], v[14:15]
	v_mov_b32_e32 v14, 0x7c89e6b0
	v_mov_b32_e32 v15, 0x3efa0199
	v_fmac_f64_e32 v[14:15], v[10:11], v[16:17]
	v_mov_b32_e32 v16, 0x14761f6e
	;; [unrolled: 3-line block ×7, first 2 shown]
	v_mov_b32_e32 v15, 0x3fe00000
	s_mov_b32 s12, 0
	v_fmac_f64_e32 v[14:15], v[10:11], v[16:17]
	s_mov_b32 s13, 0x40900000
	v_fma_f64 v[14:15], v[10:11], v[14:15], 1.0
	v_cmp_nlt_f64_e32 vcc, s[12:13], v[6:7]
	s_mov_b32 s12, 0
	v_fma_f64 v[10:11], v[10:11], v[14:15], 1.0
	v_cvt_i32_f64_e32 v4, v[8:9]
	s_mov_b32 s13, 0xc090cc00
	v_ldexp_f64 v[8:9], v[10:11], v4
	v_mov_b32_e32 v4, 0x7ff00000
	v_cmp_ngt_f64_e64 s[12:13], s[12:13], v[6:7]
	v_cndmask_b32_e32 v4, v4, v9, vcc
	s_and_b64 vcc, s[12:13], vcc
	v_cndmask_b32_e64 v7, 0, v4, s[12:13]
	v_cndmask_b32_e32 v6, 0, v8, vcc
	v_add_f64 v[0:1], v[0:1], v[6:7]
.LBB2_21:
	s_or_b64 exec, exec, s[16:17]
	v_add_u32_e32 v4, 64, v2
	v_cmp_gt_i32_e64 s[12:13], s18, v4
	s_and_b64 s[16:17], s[12:13], s[2:3]
	s_and_saveexec_b64 s[20:21], s[16:17]
	s_cbranch_execnz .LBB2_42
; %bb.22:
	s_or_b64 exec, exec, s[20:21]
	s_and_b64 s[16:17], s[12:13], s[14:15]
	s_and_saveexec_b64 s[20:21], s[16:17]
	s_cbranch_execnz .LBB2_43
.LBB2_23:
	s_or_b64 exec, exec, s[20:21]
	s_and_b64 s[16:17], s[12:13], s[8:9]
	s_and_saveexec_b64 s[20:21], s[16:17]
	s_cbranch_execnz .LBB2_44
.LBB2_24:
	s_or_b64 exec, exec, s[20:21]
	s_and_b64 s[12:13], s[12:13], s[10:11]
	s_and_saveexec_b64 s[16:17], s[12:13]
	s_cbranch_execz .LBB2_26
.LBB2_25:
	ds_read2st64_b64 v[6:9], v12 offset0:1 offset1:3
	v_add_u32_e32 v4, 0x800, v3
	ds_read2_b64 v[14:17], v4 offset0:152 offset1:184
	ds_read_b64 v[10:11], v5 offset:512
	ds_read_b64 v[18:19], v3 offset:3776
	s_waitcnt lgkmcnt(2)
	v_add_f64 v[8:9], v[8:9], -v[16:17]
	v_add_f64 v[6:7], v[6:7], -v[14:15]
	v_mul_f64 v[8:9], v[8:9], v[8:9]
	v_fmac_f64_e32 v[8:9], v[6:7], v[6:7]
	s_waitcnt lgkmcnt(0)
	v_add_f64 v[6:7], v[10:11], v[18:19]
	v_div_scale_f64 v[10:11], s[12:13], v[6:7], v[6:7], -v[8:9]
	v_rcp_f64_e32 v[14:15], v[10:11]
	s_mov_b32 s12, 0x652b82fe
	s_mov_b32 s13, 0x3ff71547
	v_fma_f64 v[16:17], -v[10:11], v[14:15], 1.0
	v_fmac_f64_e32 v[14:15], v[14:15], v[16:17]
	v_fma_f64 v[16:17], -v[10:11], v[14:15], 1.0
	v_fmac_f64_e32 v[14:15], v[14:15], v[16:17]
	v_div_scale_f64 v[16:17], vcc, -v[8:9], v[6:7], -v[8:9]
	v_mul_f64 v[18:19], v[16:17], v[14:15]
	v_fma_f64 v[10:11], -v[10:11], v[18:19], v[16:17]
	v_mov_b32_e32 v16, 0x623fde64
	s_nop 0
	v_div_fmas_f64 v[10:11], v[10:11], v[14:15], v[18:19]
	v_div_fixup_f64 v[6:7], v[10:11], v[6:7], -v[8:9]
	v_mul_f64 v[8:9], v[6:7], s[12:13]
	s_mov_b32 s12, 0xfefa39ef
	v_rndne_f64_e32 v[8:9], v[8:9]
	s_mov_b32 s13, 0xbfe62e42
	v_fma_f64 v[10:11], s[12:13], v[8:9], v[6:7]
	s_mov_b32 s12, 0x3b39803f
	s_mov_b32 s13, 0xbc7abc9e
	v_fmac_f64_e32 v[10:11], s[12:13], v[8:9]
	s_mov_b32 s12, 0x6a5dcb37
	v_mov_b32_e32 v14, 0xfca7ab0c
	v_mov_b32_e32 v15, 0x3e928af3
	s_mov_b32 s13, 0x3e5ade15
	v_fmac_f64_e32 v[14:15], s[12:13], v[10:11]
	v_mov_b32_e32 v17, 0x3ec71dee
	v_fmac_f64_e32 v[16:17], v[10:11], v[14:15]
	v_mov_b32_e32 v14, 0x7c89e6b0
	v_mov_b32_e32 v15, 0x3efa0199
	v_fmac_f64_e32 v[14:15], v[10:11], v[16:17]
	v_mov_b32_e32 v16, 0x14761f6e
	;; [unrolled: 3-line block ×7, first 2 shown]
	v_mov_b32_e32 v15, 0x3fe00000
	s_mov_b32 s12, 0
	v_fmac_f64_e32 v[14:15], v[10:11], v[16:17]
	s_mov_b32 s13, 0x40900000
	v_fma_f64 v[14:15], v[10:11], v[14:15], 1.0
	v_cmp_nlt_f64_e32 vcc, s[12:13], v[6:7]
	s_mov_b32 s12, 0
	v_fma_f64 v[10:11], v[10:11], v[14:15], 1.0
	v_cvt_i32_f64_e32 v4, v[8:9]
	s_mov_b32 s13, 0xc090cc00
	v_ldexp_f64 v[8:9], v[10:11], v4
	v_mov_b32_e32 v4, 0x7ff00000
	v_cmp_ngt_f64_e64 s[12:13], s[12:13], v[6:7]
	v_cndmask_b32_e32 v4, v4, v9, vcc
	s_and_b64 vcc, s[12:13], vcc
	v_cndmask_b32_e64 v7, 0, v4, s[12:13]
	v_cndmask_b32_e32 v6, 0, v8, vcc
	v_add_f64 v[0:1], v[0:1], v[6:7]
.LBB2_26:
	s_or_b64 exec, exec, s[16:17]
	v_add_u32_e32 v2, 0x60, v2
	v_cmp_gt_i32_e64 s[12:13], s18, v2
	s_and_b64 s[2:3], s[12:13], s[2:3]
	s_and_saveexec_b64 s[16:17], s[2:3]
	s_cbranch_execnz .LBB2_45
; %bb.27:
	s_or_b64 exec, exec, s[16:17]
	s_and_b64 s[2:3], s[12:13], s[14:15]
	s_and_saveexec_b64 s[14:15], s[2:3]
	s_cbranch_execnz .LBB2_46
.LBB2_28:
	s_or_b64 exec, exec, s[14:15]
	s_and_b64 s[2:3], s[12:13], s[8:9]
	s_and_saveexec_b64 s[8:9], s[2:3]
	s_cbranch_execz .LBB2_30
.LBB2_29:
	ds_read2_b64 v[6:9], v12 offset0:96 offset1:224
	v_add_u32_e32 v2, 0x800, v3
	ds_read2_b64 v[14:17], v2 offset0:144 offset1:176
	ds_read_b64 v[10:11], v5 offset:768
	ds_read_b64 v[18:19], v3 offset:3712
	s_waitcnt lgkmcnt(2)
	v_add_f64 v[8:9], v[8:9], -v[16:17]
	v_add_f64 v[6:7], v[6:7], -v[14:15]
	v_mul_f64 v[8:9], v[8:9], v[8:9]
	v_fmac_f64_e32 v[8:9], v[6:7], v[6:7]
	s_waitcnt lgkmcnt(0)
	v_add_f64 v[6:7], v[10:11], v[18:19]
	v_div_scale_f64 v[10:11], s[2:3], v[6:7], v[6:7], -v[8:9]
	v_rcp_f64_e32 v[14:15], v[10:11]
	s_mov_b32 s2, 0x652b82fe
	s_mov_b32 s3, 0x3ff71547
	v_fma_f64 v[16:17], -v[10:11], v[14:15], 1.0
	v_fmac_f64_e32 v[14:15], v[14:15], v[16:17]
	v_fma_f64 v[16:17], -v[10:11], v[14:15], 1.0
	v_fmac_f64_e32 v[14:15], v[14:15], v[16:17]
	v_div_scale_f64 v[16:17], vcc, -v[8:9], v[6:7], -v[8:9]
	v_mul_f64 v[18:19], v[16:17], v[14:15]
	v_fma_f64 v[10:11], -v[10:11], v[18:19], v[16:17]
	v_mov_b32_e32 v16, 0x623fde64
	s_nop 0
	v_div_fmas_f64 v[10:11], v[10:11], v[14:15], v[18:19]
	v_div_fixup_f64 v[6:7], v[10:11], v[6:7], -v[8:9]
	v_mul_f64 v[8:9], v[6:7], s[2:3]
	s_mov_b32 s2, 0xfefa39ef
	v_rndne_f64_e32 v[8:9], v[8:9]
	s_mov_b32 s3, 0xbfe62e42
	v_fma_f64 v[10:11], s[2:3], v[8:9], v[6:7]
	s_mov_b32 s2, 0x3b39803f
	s_mov_b32 s3, 0xbc7abc9e
	v_fmac_f64_e32 v[10:11], s[2:3], v[8:9]
	s_mov_b32 s2, 0x6a5dcb37
	v_mov_b32_e32 v14, 0xfca7ab0c
	v_mov_b32_e32 v15, 0x3e928af3
	s_mov_b32 s3, 0x3e5ade15
	v_fmac_f64_e32 v[14:15], s[2:3], v[10:11]
	v_mov_b32_e32 v17, 0x3ec71dee
	v_fmac_f64_e32 v[16:17], v[10:11], v[14:15]
	v_mov_b32_e32 v14, 0x7c89e6b0
	v_mov_b32_e32 v15, 0x3efa0199
	v_fmac_f64_e32 v[14:15], v[10:11], v[16:17]
	v_mov_b32_e32 v16, 0x14761f6e
	;; [unrolled: 3-line block ×7, first 2 shown]
	v_mov_b32_e32 v15, 0x3fe00000
	s_mov_b32 s2, 0
	v_fmac_f64_e32 v[14:15], v[10:11], v[16:17]
	s_mov_b32 s3, 0x40900000
	v_fma_f64 v[14:15], v[10:11], v[14:15], 1.0
	v_cmp_nlt_f64_e32 vcc, s[2:3], v[6:7]
	s_mov_b32 s2, 0
	v_fma_f64 v[10:11], v[10:11], v[14:15], 1.0
	v_cvt_i32_f64_e32 v2, v[8:9]
	s_mov_b32 s3, 0xc090cc00
	v_ldexp_f64 v[8:9], v[10:11], v2
	v_mov_b32_e32 v2, 0x7ff00000
	v_cmp_ngt_f64_e64 s[2:3], s[2:3], v[6:7]
	v_cndmask_b32_e32 v2, v2, v9, vcc
	s_and_b64 vcc, s[2:3], vcc
	v_cndmask_b32_e64 v7, 0, v2, s[2:3]
	v_cndmask_b32_e32 v6, 0, v8, vcc
	v_add_f64 v[0:1], v[0:1], v[6:7]
.LBB2_30:
	s_or_b64 exec, exec, s[8:9]
	s_load_dwordx2 s[8:9], s[4:5], 0x28
	s_and_b64 s[2:3], s[12:13], s[10:11]
	s_and_saveexec_b64 s[10:11], s[2:3]
	s_cbranch_execz .LBB2_32
; %bb.31:
	ds_read2_b64 v[6:9], v12 offset0:96 offset1:224
	v_add_u32_e32 v2, 0x800, v3
	ds_read2_b64 v[10:13], v2 offset0:152 offset1:184
	ds_read_b64 v[4:5], v5 offset:768
	ds_read_b64 v[2:3], v3 offset:3776
	s_waitcnt lgkmcnt(0)
	v_add_f64 v[8:9], v[8:9], -v[12:13]
	v_add_f64 v[6:7], v[6:7], -v[10:11]
	v_mul_f64 v[8:9], v[8:9], v[8:9]
	v_fmac_f64_e32 v[8:9], v[6:7], v[6:7]
	v_add_f64 v[2:3], v[4:5], v[2:3]
	v_div_scale_f64 v[4:5], s[2:3], v[2:3], v[2:3], -v[8:9]
	v_rcp_f64_e32 v[6:7], v[4:5]
	s_mov_b32 s2, 0x652b82fe
	s_mov_b32 s3, 0x3ff71547
	v_fma_f64 v[10:11], -v[4:5], v[6:7], 1.0
	v_fmac_f64_e32 v[6:7], v[6:7], v[10:11]
	v_fma_f64 v[10:11], -v[4:5], v[6:7], 1.0
	v_fmac_f64_e32 v[6:7], v[6:7], v[10:11]
	v_div_scale_f64 v[10:11], vcc, -v[8:9], v[2:3], -v[8:9]
	v_mul_f64 v[12:13], v[10:11], v[6:7]
	v_fma_f64 v[4:5], -v[4:5], v[12:13], v[10:11]
	v_mov_b32_e32 v10, 0x623fde64
	s_nop 0
	v_div_fmas_f64 v[4:5], v[4:5], v[6:7], v[12:13]
	v_div_fixup_f64 v[2:3], v[4:5], v[2:3], -v[8:9]
	v_mul_f64 v[4:5], v[2:3], s[2:3]
	s_mov_b32 s2, 0xfefa39ef
	v_rndne_f64_e32 v[4:5], v[4:5]
	s_mov_b32 s3, 0xbfe62e42
	v_fma_f64 v[6:7], s[2:3], v[4:5], v[2:3]
	s_mov_b32 s2, 0x3b39803f
	s_mov_b32 s3, 0xbc7abc9e
	v_fmac_f64_e32 v[6:7], s[2:3], v[4:5]
	s_mov_b32 s2, 0x6a5dcb37
	v_mov_b32_e32 v8, 0xfca7ab0c
	v_mov_b32_e32 v9, 0x3e928af3
	s_mov_b32 s3, 0x3e5ade15
	v_fmac_f64_e32 v[8:9], s[2:3], v[6:7]
	v_mov_b32_e32 v11, 0x3ec71dee
	v_fmac_f64_e32 v[10:11], v[6:7], v[8:9]
	v_mov_b32_e32 v8, 0x7c89e6b0
	v_mov_b32_e32 v9, 0x3efa0199
	v_fmac_f64_e32 v[8:9], v[6:7], v[10:11]
	v_mov_b32_e32 v10, 0x14761f6e
	;; [unrolled: 3-line block ×7, first 2 shown]
	v_mov_b32_e32 v9, 0x3fe00000
	s_mov_b32 s2, 0
	v_fmac_f64_e32 v[8:9], v[6:7], v[10:11]
	s_mov_b32 s3, 0x40900000
	v_fma_f64 v[8:9], v[6:7], v[8:9], 1.0
	v_cmp_nlt_f64_e32 vcc, s[2:3], v[2:3]
	s_mov_b32 s2, 0
	v_fma_f64 v[6:7], v[6:7], v[8:9], 1.0
	v_cvt_i32_f64_e32 v4, v[4:5]
	s_mov_b32 s3, 0xc090cc00
	v_ldexp_f64 v[4:5], v[6:7], v4
	v_mov_b32_e32 v6, 0x7ff00000
	v_cmp_ngt_f64_e64 s[2:3], s[2:3], v[2:3]
	v_cndmask_b32_e32 v5, v6, v5, vcc
	s_and_b64 vcc, s[2:3], vcc
	v_cndmask_b32_e64 v3, 0, v5, s[2:3]
	v_cndmask_b32_e32 v2, 0, v4, vcc
	v_add_f64 v[0:1], v[0:1], v[2:3]
.LBB2_32:
	s_or_b64 exec, exec, s[10:11]
	v_mov_b32_e32 v2, 0
	s_mov_b64 s[2:3], exec
	v_bfrev_b32_e32 v3, 1
.LBB2_33:                               ; =>This Inner Loop Header: Depth=1
	s_ff1_i32_b64 s12, s[2:3]
	v_readlane_b32 s11, v1, s12
	v_readlane_b32 s10, v0, s12
	s_lshl_b64 s[12:13], 1, s12
	s_andn2_b64 s[2:3], s[2:3], s[12:13]
	s_cmp_lg_u64 s[2:3], 0
	v_add_f64 v[2:3], v[2:3], s[10:11]
	s_cbranch_scc1 .LBB2_33
; %bb.34:
	v_mbcnt_lo_u32_b32 v0, exec_lo, 0
	v_mbcnt_hi_u32_b32 v0, exec_hi, v0
	v_cmp_eq_u32_e32 vcc, 0, v0
	s_and_saveexec_b64 s[2:3], vcc
	s_xor_b64 s[2:3], exec, s[2:3]
	s_cbranch_execz .LBB2_36
; %bb.35:
	v_mov_b32_e32 v0, 0
	ds_add_f64 v0, v[2:3] offset:3840
.LBB2_36:
	s_or_b64 exec, exec, s[2:3]
	s_waitcnt lgkmcnt(0)
	s_barrier
	s_and_saveexec_b64 s[2:3], s[0:1]
	s_cbranch_execz .LBB2_38
; %bb.37:
	s_load_dword s0, s[4:5], 0x30
	v_mov_b32_e32 v2, 0
	ds_read_b64 v[0:1], v2 offset:3840
	s_mov_b32 s1, 0
	s_waitcnt lgkmcnt(0)
	s_mul_i32 s0, s0, s7
	s_add_i32 s0, s0, s6
	s_lshl_b64 s[0:1], s[0:1], 3
	s_add_u32 s0, s8, s0
	s_addc_u32 s1, s9, s1
	global_store_dwordx2 v2, v[0:1], s[0:1]
.LBB2_38:
	s_endpgm
.LBB2_39:
	ds_read2_b64 v[6:9], v12 offset0:32 offset1:160
	v_add_u32_e32 v4, 0x800, v3
	ds_read2_b64 v[14:17], v4 offset0:128 offset1:160
	ds_read_b64 v[10:11], v5 offset:256
	ds_read_b64 v[18:19], v3 offset:3584
	s_waitcnt lgkmcnt(2)
	v_add_f64 v[8:9], v[8:9], -v[16:17]
	v_add_f64 v[6:7], v[6:7], -v[14:15]
	v_mul_f64 v[8:9], v[8:9], v[8:9]
	v_fmac_f64_e32 v[8:9], v[6:7], v[6:7]
	s_waitcnt lgkmcnt(0)
	v_add_f64 v[6:7], v[10:11], v[18:19]
	v_div_scale_f64 v[10:11], s[16:17], v[6:7], v[6:7], -v[8:9]
	v_rcp_f64_e32 v[14:15], v[10:11]
	s_mov_b32 s16, 0x652b82fe
	s_mov_b32 s17, 0x3ff71547
	v_fma_f64 v[16:17], -v[10:11], v[14:15], 1.0
	v_fmac_f64_e32 v[14:15], v[14:15], v[16:17]
	v_fma_f64 v[16:17], -v[10:11], v[14:15], 1.0
	v_fmac_f64_e32 v[14:15], v[14:15], v[16:17]
	v_div_scale_f64 v[16:17], vcc, -v[8:9], v[6:7], -v[8:9]
	v_mul_f64 v[18:19], v[16:17], v[14:15]
	v_fma_f64 v[10:11], -v[10:11], v[18:19], v[16:17]
	v_mov_b32_e32 v16, 0x623fde64
	s_nop 0
	v_div_fmas_f64 v[10:11], v[10:11], v[14:15], v[18:19]
	v_div_fixup_f64 v[6:7], v[10:11], v[6:7], -v[8:9]
	v_mul_f64 v[8:9], v[6:7], s[16:17]
	s_mov_b32 s16, 0xfefa39ef
	v_rndne_f64_e32 v[8:9], v[8:9]
	s_mov_b32 s17, 0xbfe62e42
	v_fma_f64 v[10:11], s[16:17], v[8:9], v[6:7]
	s_mov_b32 s16, 0x3b39803f
	s_mov_b32 s17, 0xbc7abc9e
	v_fmac_f64_e32 v[10:11], s[16:17], v[8:9]
	s_mov_b32 s16, 0x6a5dcb37
	v_mov_b32_e32 v14, 0xfca7ab0c
	v_mov_b32_e32 v15, 0x3e928af3
	s_mov_b32 s17, 0x3e5ade15
	v_fmac_f64_e32 v[14:15], s[16:17], v[10:11]
	v_mov_b32_e32 v17, 0x3ec71dee
	v_fmac_f64_e32 v[16:17], v[10:11], v[14:15]
	v_mov_b32_e32 v14, 0x7c89e6b0
	v_mov_b32_e32 v15, 0x3efa0199
	v_fmac_f64_e32 v[14:15], v[10:11], v[16:17]
	v_mov_b32_e32 v16, 0x14761f6e
	;; [unrolled: 3-line block ×7, first 2 shown]
	v_mov_b32_e32 v15, 0x3fe00000
	s_mov_b32 s16, 0
	v_fmac_f64_e32 v[14:15], v[10:11], v[16:17]
	s_mov_b32 s17, 0x40900000
	v_fma_f64 v[14:15], v[10:11], v[14:15], 1.0
	v_cmp_nlt_f64_e32 vcc, s[16:17], v[6:7]
	s_mov_b32 s16, 0
	v_fma_f64 v[10:11], v[10:11], v[14:15], 1.0
	v_cvt_i32_f64_e32 v4, v[8:9]
	s_mov_b32 s17, 0xc090cc00
	v_ldexp_f64 v[8:9], v[10:11], v4
	v_mov_b32_e32 v4, 0x7ff00000
	v_cmp_ngt_f64_e64 s[16:17], s[16:17], v[6:7]
	v_cndmask_b32_e32 v4, v4, v9, vcc
	s_and_b64 vcc, s[16:17], vcc
	v_cndmask_b32_e64 v7, 0, v4, s[16:17]
	v_cndmask_b32_e32 v6, 0, v8, vcc
	v_add_f64 v[0:1], v[0:1], v[6:7]
	s_or_b64 exec, exec, s[20:21]
	s_and_b64 s[16:17], s[12:13], s[14:15]
	s_and_saveexec_b64 s[20:21], s[16:17]
	s_cbranch_execz .LBB2_18
.LBB2_40:
	ds_read2_b64 v[6:9], v12 offset0:32 offset1:160
	v_add_u32_e32 v4, 0x800, v3
	ds_read2_b64 v[14:17], v4 offset0:136 offset1:168
	ds_read_b64 v[10:11], v5 offset:256
	ds_read_b64 v[18:19], v3 offset:3648
	s_waitcnt lgkmcnt(2)
	v_add_f64 v[8:9], v[8:9], -v[16:17]
	v_add_f64 v[6:7], v[6:7], -v[14:15]
	v_mul_f64 v[8:9], v[8:9], v[8:9]
	v_fmac_f64_e32 v[8:9], v[6:7], v[6:7]
	s_waitcnt lgkmcnt(0)
	v_add_f64 v[6:7], v[10:11], v[18:19]
	v_div_scale_f64 v[10:11], s[16:17], v[6:7], v[6:7], -v[8:9]
	v_rcp_f64_e32 v[14:15], v[10:11]
	s_mov_b32 s16, 0x652b82fe
	s_mov_b32 s17, 0x3ff71547
	v_fma_f64 v[16:17], -v[10:11], v[14:15], 1.0
	v_fmac_f64_e32 v[14:15], v[14:15], v[16:17]
	v_fma_f64 v[16:17], -v[10:11], v[14:15], 1.0
	v_fmac_f64_e32 v[14:15], v[14:15], v[16:17]
	v_div_scale_f64 v[16:17], vcc, -v[8:9], v[6:7], -v[8:9]
	v_mul_f64 v[18:19], v[16:17], v[14:15]
	v_fma_f64 v[10:11], -v[10:11], v[18:19], v[16:17]
	v_mov_b32_e32 v16, 0x623fde64
	s_nop 0
	v_div_fmas_f64 v[10:11], v[10:11], v[14:15], v[18:19]
	v_div_fixup_f64 v[6:7], v[10:11], v[6:7], -v[8:9]
	v_mul_f64 v[8:9], v[6:7], s[16:17]
	s_mov_b32 s16, 0xfefa39ef
	v_rndne_f64_e32 v[8:9], v[8:9]
	s_mov_b32 s17, 0xbfe62e42
	v_fma_f64 v[10:11], s[16:17], v[8:9], v[6:7]
	s_mov_b32 s16, 0x3b39803f
	s_mov_b32 s17, 0xbc7abc9e
	v_fmac_f64_e32 v[10:11], s[16:17], v[8:9]
	s_mov_b32 s16, 0x6a5dcb37
	v_mov_b32_e32 v14, 0xfca7ab0c
	v_mov_b32_e32 v15, 0x3e928af3
	s_mov_b32 s17, 0x3e5ade15
	v_fmac_f64_e32 v[14:15], s[16:17], v[10:11]
	v_mov_b32_e32 v17, 0x3ec71dee
	v_fmac_f64_e32 v[16:17], v[10:11], v[14:15]
	v_mov_b32_e32 v14, 0x7c89e6b0
	v_mov_b32_e32 v15, 0x3efa0199
	v_fmac_f64_e32 v[14:15], v[10:11], v[16:17]
	v_mov_b32_e32 v16, 0x14761f6e
	;; [unrolled: 3-line block ×7, first 2 shown]
	v_mov_b32_e32 v15, 0x3fe00000
	s_mov_b32 s16, 0
	v_fmac_f64_e32 v[14:15], v[10:11], v[16:17]
	s_mov_b32 s17, 0x40900000
	v_fma_f64 v[14:15], v[10:11], v[14:15], 1.0
	v_cmp_nlt_f64_e32 vcc, s[16:17], v[6:7]
	s_mov_b32 s16, 0
	v_fma_f64 v[10:11], v[10:11], v[14:15], 1.0
	v_cvt_i32_f64_e32 v4, v[8:9]
	s_mov_b32 s17, 0xc090cc00
	v_ldexp_f64 v[8:9], v[10:11], v4
	v_mov_b32_e32 v4, 0x7ff00000
	v_cmp_ngt_f64_e64 s[16:17], s[16:17], v[6:7]
	v_cndmask_b32_e32 v4, v4, v9, vcc
	s_and_b64 vcc, s[16:17], vcc
	v_cndmask_b32_e64 v7, 0, v4, s[16:17]
	v_cndmask_b32_e32 v6, 0, v8, vcc
	v_add_f64 v[0:1], v[0:1], v[6:7]
	s_or_b64 exec, exec, s[20:21]
	s_and_b64 s[16:17], s[12:13], s[8:9]
	s_and_saveexec_b64 s[20:21], s[16:17]
	s_cbranch_execz .LBB2_19
.LBB2_41:
	ds_read2_b64 v[6:9], v12 offset0:32 offset1:160
	v_add_u32_e32 v4, 0x800, v3
	ds_read2_b64 v[14:17], v4 offset0:144 offset1:176
	ds_read_b64 v[10:11], v5 offset:256
	ds_read_b64 v[18:19], v3 offset:3712
	s_waitcnt lgkmcnt(2)
	v_add_f64 v[8:9], v[8:9], -v[16:17]
	v_add_f64 v[6:7], v[6:7], -v[14:15]
	v_mul_f64 v[8:9], v[8:9], v[8:9]
	v_fmac_f64_e32 v[8:9], v[6:7], v[6:7]
	s_waitcnt lgkmcnt(0)
	v_add_f64 v[6:7], v[10:11], v[18:19]
	v_div_scale_f64 v[10:11], s[16:17], v[6:7], v[6:7], -v[8:9]
	v_rcp_f64_e32 v[14:15], v[10:11]
	s_mov_b32 s16, 0x652b82fe
	s_mov_b32 s17, 0x3ff71547
	v_fma_f64 v[16:17], -v[10:11], v[14:15], 1.0
	v_fmac_f64_e32 v[14:15], v[14:15], v[16:17]
	v_fma_f64 v[16:17], -v[10:11], v[14:15], 1.0
	v_fmac_f64_e32 v[14:15], v[14:15], v[16:17]
	v_div_scale_f64 v[16:17], vcc, -v[8:9], v[6:7], -v[8:9]
	v_mul_f64 v[18:19], v[16:17], v[14:15]
	v_fma_f64 v[10:11], -v[10:11], v[18:19], v[16:17]
	v_mov_b32_e32 v16, 0x623fde64
	s_nop 0
	v_div_fmas_f64 v[10:11], v[10:11], v[14:15], v[18:19]
	v_div_fixup_f64 v[6:7], v[10:11], v[6:7], -v[8:9]
	v_mul_f64 v[8:9], v[6:7], s[16:17]
	s_mov_b32 s16, 0xfefa39ef
	v_rndne_f64_e32 v[8:9], v[8:9]
	s_mov_b32 s17, 0xbfe62e42
	v_fma_f64 v[10:11], s[16:17], v[8:9], v[6:7]
	s_mov_b32 s16, 0x3b39803f
	s_mov_b32 s17, 0xbc7abc9e
	v_fmac_f64_e32 v[10:11], s[16:17], v[8:9]
	s_mov_b32 s16, 0x6a5dcb37
	v_mov_b32_e32 v14, 0xfca7ab0c
	v_mov_b32_e32 v15, 0x3e928af3
	s_mov_b32 s17, 0x3e5ade15
	v_fmac_f64_e32 v[14:15], s[16:17], v[10:11]
	v_mov_b32_e32 v17, 0x3ec71dee
	v_fmac_f64_e32 v[16:17], v[10:11], v[14:15]
	v_mov_b32_e32 v14, 0x7c89e6b0
	v_mov_b32_e32 v15, 0x3efa0199
	v_fmac_f64_e32 v[14:15], v[10:11], v[16:17]
	v_mov_b32_e32 v16, 0x14761f6e
	v_mov_b32_e32 v17, 0x3f2a01a0
	v_fmac_f64_e32 v[16:17], v[10:11], v[14:15]
	v_mov_b32_e32 v14, 0x1852b7b0
	v_mov_b32_e32 v15, 0x3f56c16c
	v_fmac_f64_e32 v[14:15], v[10:11], v[16:17]
	v_mov_b32_e32 v16, 0x11122322
	v_mov_b32_e32 v17, 0x3f811111
	v_fmac_f64_e32 v[16:17], v[10:11], v[14:15]
	v_mov_b32_e32 v14, 0x555502a1
	v_mov_b32_e32 v15, 0x3fa55555
	v_fmac_f64_e32 v[14:15], v[10:11], v[16:17]
	v_mov_b32_e32 v16, 0x55555511
	v_mov_b32_e32 v17, 0x3fc55555
	v_fmac_f64_e32 v[16:17], v[10:11], v[14:15]
	v_mov_b32_e32 v14, 11
	v_mov_b32_e32 v15, 0x3fe00000
	s_mov_b32 s16, 0
	v_fmac_f64_e32 v[14:15], v[10:11], v[16:17]
	s_mov_b32 s17, 0x40900000
	v_fma_f64 v[14:15], v[10:11], v[14:15], 1.0
	v_cmp_nlt_f64_e32 vcc, s[16:17], v[6:7]
	s_mov_b32 s16, 0
	v_fma_f64 v[10:11], v[10:11], v[14:15], 1.0
	v_cvt_i32_f64_e32 v4, v[8:9]
	s_mov_b32 s17, 0xc090cc00
	v_ldexp_f64 v[8:9], v[10:11], v4
	v_mov_b32_e32 v4, 0x7ff00000
	v_cmp_ngt_f64_e64 s[16:17], s[16:17], v[6:7]
	v_cndmask_b32_e32 v4, v4, v9, vcc
	s_and_b64 vcc, s[16:17], vcc
	v_cndmask_b32_e64 v7, 0, v4, s[16:17]
	v_cndmask_b32_e32 v6, 0, v8, vcc
	v_add_f64 v[0:1], v[0:1], v[6:7]
	s_or_b64 exec, exec, s[20:21]
	s_and_b64 s[12:13], s[12:13], s[10:11]
	s_and_saveexec_b64 s[16:17], s[12:13]
	s_cbranch_execnz .LBB2_20
	s_branch .LBB2_21
.LBB2_42:
	ds_read2st64_b64 v[6:9], v12 offset0:1 offset1:3
	v_add_u32_e32 v4, 0x800, v3
	ds_read2_b64 v[14:17], v4 offset0:128 offset1:160
	ds_read_b64 v[10:11], v5 offset:512
	ds_read_b64 v[18:19], v3 offset:3584
	s_waitcnt lgkmcnt(2)
	v_add_f64 v[8:9], v[8:9], -v[16:17]
	v_add_f64 v[6:7], v[6:7], -v[14:15]
	v_mul_f64 v[8:9], v[8:9], v[8:9]
	v_fmac_f64_e32 v[8:9], v[6:7], v[6:7]
	s_waitcnt lgkmcnt(0)
	v_add_f64 v[6:7], v[10:11], v[18:19]
	v_div_scale_f64 v[10:11], s[16:17], v[6:7], v[6:7], -v[8:9]
	v_rcp_f64_e32 v[14:15], v[10:11]
	s_mov_b32 s16, 0x652b82fe
	s_mov_b32 s17, 0x3ff71547
	v_fma_f64 v[16:17], -v[10:11], v[14:15], 1.0
	v_fmac_f64_e32 v[14:15], v[14:15], v[16:17]
	v_fma_f64 v[16:17], -v[10:11], v[14:15], 1.0
	v_fmac_f64_e32 v[14:15], v[14:15], v[16:17]
	v_div_scale_f64 v[16:17], vcc, -v[8:9], v[6:7], -v[8:9]
	v_mul_f64 v[18:19], v[16:17], v[14:15]
	v_fma_f64 v[10:11], -v[10:11], v[18:19], v[16:17]
	v_mov_b32_e32 v16, 0x623fde64
	s_nop 0
	v_div_fmas_f64 v[10:11], v[10:11], v[14:15], v[18:19]
	v_div_fixup_f64 v[6:7], v[10:11], v[6:7], -v[8:9]
	v_mul_f64 v[8:9], v[6:7], s[16:17]
	s_mov_b32 s16, 0xfefa39ef
	v_rndne_f64_e32 v[8:9], v[8:9]
	s_mov_b32 s17, 0xbfe62e42
	v_fma_f64 v[10:11], s[16:17], v[8:9], v[6:7]
	s_mov_b32 s16, 0x3b39803f
	s_mov_b32 s17, 0xbc7abc9e
	v_fmac_f64_e32 v[10:11], s[16:17], v[8:9]
	s_mov_b32 s16, 0x6a5dcb37
	v_mov_b32_e32 v14, 0xfca7ab0c
	v_mov_b32_e32 v15, 0x3e928af3
	s_mov_b32 s17, 0x3e5ade15
	v_fmac_f64_e32 v[14:15], s[16:17], v[10:11]
	v_mov_b32_e32 v17, 0x3ec71dee
	v_fmac_f64_e32 v[16:17], v[10:11], v[14:15]
	v_mov_b32_e32 v14, 0x7c89e6b0
	v_mov_b32_e32 v15, 0x3efa0199
	v_fmac_f64_e32 v[14:15], v[10:11], v[16:17]
	v_mov_b32_e32 v16, 0x14761f6e
	;; [unrolled: 3-line block ×7, first 2 shown]
	v_mov_b32_e32 v15, 0x3fe00000
	s_mov_b32 s16, 0
	v_fmac_f64_e32 v[14:15], v[10:11], v[16:17]
	s_mov_b32 s17, 0x40900000
	v_fma_f64 v[14:15], v[10:11], v[14:15], 1.0
	v_cmp_nlt_f64_e32 vcc, s[16:17], v[6:7]
	s_mov_b32 s16, 0
	v_fma_f64 v[10:11], v[10:11], v[14:15], 1.0
	v_cvt_i32_f64_e32 v4, v[8:9]
	s_mov_b32 s17, 0xc090cc00
	v_ldexp_f64 v[8:9], v[10:11], v4
	v_mov_b32_e32 v4, 0x7ff00000
	v_cmp_ngt_f64_e64 s[16:17], s[16:17], v[6:7]
	v_cndmask_b32_e32 v4, v4, v9, vcc
	s_and_b64 vcc, s[16:17], vcc
	v_cndmask_b32_e64 v7, 0, v4, s[16:17]
	v_cndmask_b32_e32 v6, 0, v8, vcc
	v_add_f64 v[0:1], v[0:1], v[6:7]
	s_or_b64 exec, exec, s[20:21]
	s_and_b64 s[16:17], s[12:13], s[14:15]
	s_and_saveexec_b64 s[20:21], s[16:17]
	s_cbranch_execz .LBB2_23
.LBB2_43:
	ds_read2st64_b64 v[6:9], v12 offset0:1 offset1:3
	v_add_u32_e32 v4, 0x800, v3
	ds_read2_b64 v[14:17], v4 offset0:136 offset1:168
	ds_read_b64 v[10:11], v5 offset:512
	ds_read_b64 v[18:19], v3 offset:3648
	s_waitcnt lgkmcnt(2)
	v_add_f64 v[8:9], v[8:9], -v[16:17]
	v_add_f64 v[6:7], v[6:7], -v[14:15]
	v_mul_f64 v[8:9], v[8:9], v[8:9]
	v_fmac_f64_e32 v[8:9], v[6:7], v[6:7]
	s_waitcnt lgkmcnt(0)
	v_add_f64 v[6:7], v[10:11], v[18:19]
	v_div_scale_f64 v[10:11], s[16:17], v[6:7], v[6:7], -v[8:9]
	v_rcp_f64_e32 v[14:15], v[10:11]
	s_mov_b32 s16, 0x652b82fe
	s_mov_b32 s17, 0x3ff71547
	v_fma_f64 v[16:17], -v[10:11], v[14:15], 1.0
	v_fmac_f64_e32 v[14:15], v[14:15], v[16:17]
	v_fma_f64 v[16:17], -v[10:11], v[14:15], 1.0
	v_fmac_f64_e32 v[14:15], v[14:15], v[16:17]
	v_div_scale_f64 v[16:17], vcc, -v[8:9], v[6:7], -v[8:9]
	v_mul_f64 v[18:19], v[16:17], v[14:15]
	v_fma_f64 v[10:11], -v[10:11], v[18:19], v[16:17]
	v_mov_b32_e32 v16, 0x623fde64
	s_nop 0
	v_div_fmas_f64 v[10:11], v[10:11], v[14:15], v[18:19]
	v_div_fixup_f64 v[6:7], v[10:11], v[6:7], -v[8:9]
	v_mul_f64 v[8:9], v[6:7], s[16:17]
	s_mov_b32 s16, 0xfefa39ef
	v_rndne_f64_e32 v[8:9], v[8:9]
	s_mov_b32 s17, 0xbfe62e42
	v_fma_f64 v[10:11], s[16:17], v[8:9], v[6:7]
	s_mov_b32 s16, 0x3b39803f
	s_mov_b32 s17, 0xbc7abc9e
	v_fmac_f64_e32 v[10:11], s[16:17], v[8:9]
	s_mov_b32 s16, 0x6a5dcb37
	v_mov_b32_e32 v14, 0xfca7ab0c
	v_mov_b32_e32 v15, 0x3e928af3
	s_mov_b32 s17, 0x3e5ade15
	v_fmac_f64_e32 v[14:15], s[16:17], v[10:11]
	v_mov_b32_e32 v17, 0x3ec71dee
	v_fmac_f64_e32 v[16:17], v[10:11], v[14:15]
	v_mov_b32_e32 v14, 0x7c89e6b0
	v_mov_b32_e32 v15, 0x3efa0199
	v_fmac_f64_e32 v[14:15], v[10:11], v[16:17]
	v_mov_b32_e32 v16, 0x14761f6e
	;; [unrolled: 3-line block ×7, first 2 shown]
	v_mov_b32_e32 v15, 0x3fe00000
	s_mov_b32 s16, 0
	v_fmac_f64_e32 v[14:15], v[10:11], v[16:17]
	s_mov_b32 s17, 0x40900000
	v_fma_f64 v[14:15], v[10:11], v[14:15], 1.0
	v_cmp_nlt_f64_e32 vcc, s[16:17], v[6:7]
	s_mov_b32 s16, 0
	v_fma_f64 v[10:11], v[10:11], v[14:15], 1.0
	v_cvt_i32_f64_e32 v4, v[8:9]
	s_mov_b32 s17, 0xc090cc00
	v_ldexp_f64 v[8:9], v[10:11], v4
	v_mov_b32_e32 v4, 0x7ff00000
	v_cmp_ngt_f64_e64 s[16:17], s[16:17], v[6:7]
	v_cndmask_b32_e32 v4, v4, v9, vcc
	s_and_b64 vcc, s[16:17], vcc
	v_cndmask_b32_e64 v7, 0, v4, s[16:17]
	v_cndmask_b32_e32 v6, 0, v8, vcc
	v_add_f64 v[0:1], v[0:1], v[6:7]
	s_or_b64 exec, exec, s[20:21]
	s_and_b64 s[16:17], s[12:13], s[8:9]
	s_and_saveexec_b64 s[20:21], s[16:17]
	s_cbranch_execz .LBB2_24
.LBB2_44:
	ds_read2st64_b64 v[6:9], v12 offset0:1 offset1:3
	v_add_u32_e32 v4, 0x800, v3
	ds_read2_b64 v[14:17], v4 offset0:144 offset1:176
	ds_read_b64 v[10:11], v5 offset:512
	ds_read_b64 v[18:19], v3 offset:3712
	s_waitcnt lgkmcnt(2)
	v_add_f64 v[8:9], v[8:9], -v[16:17]
	v_add_f64 v[6:7], v[6:7], -v[14:15]
	v_mul_f64 v[8:9], v[8:9], v[8:9]
	v_fmac_f64_e32 v[8:9], v[6:7], v[6:7]
	s_waitcnt lgkmcnt(0)
	v_add_f64 v[6:7], v[10:11], v[18:19]
	v_div_scale_f64 v[10:11], s[16:17], v[6:7], v[6:7], -v[8:9]
	v_rcp_f64_e32 v[14:15], v[10:11]
	s_mov_b32 s16, 0x652b82fe
	s_mov_b32 s17, 0x3ff71547
	v_fma_f64 v[16:17], -v[10:11], v[14:15], 1.0
	v_fmac_f64_e32 v[14:15], v[14:15], v[16:17]
	v_fma_f64 v[16:17], -v[10:11], v[14:15], 1.0
	v_fmac_f64_e32 v[14:15], v[14:15], v[16:17]
	v_div_scale_f64 v[16:17], vcc, -v[8:9], v[6:7], -v[8:9]
	v_mul_f64 v[18:19], v[16:17], v[14:15]
	v_fma_f64 v[10:11], -v[10:11], v[18:19], v[16:17]
	v_mov_b32_e32 v16, 0x623fde64
	s_nop 0
	v_div_fmas_f64 v[10:11], v[10:11], v[14:15], v[18:19]
	v_div_fixup_f64 v[6:7], v[10:11], v[6:7], -v[8:9]
	v_mul_f64 v[8:9], v[6:7], s[16:17]
	s_mov_b32 s16, 0xfefa39ef
	v_rndne_f64_e32 v[8:9], v[8:9]
	s_mov_b32 s17, 0xbfe62e42
	v_fma_f64 v[10:11], s[16:17], v[8:9], v[6:7]
	s_mov_b32 s16, 0x3b39803f
	s_mov_b32 s17, 0xbc7abc9e
	v_fmac_f64_e32 v[10:11], s[16:17], v[8:9]
	s_mov_b32 s16, 0x6a5dcb37
	v_mov_b32_e32 v14, 0xfca7ab0c
	v_mov_b32_e32 v15, 0x3e928af3
	s_mov_b32 s17, 0x3e5ade15
	v_fmac_f64_e32 v[14:15], s[16:17], v[10:11]
	v_mov_b32_e32 v17, 0x3ec71dee
	v_fmac_f64_e32 v[16:17], v[10:11], v[14:15]
	v_mov_b32_e32 v14, 0x7c89e6b0
	v_mov_b32_e32 v15, 0x3efa0199
	v_fmac_f64_e32 v[14:15], v[10:11], v[16:17]
	v_mov_b32_e32 v16, 0x14761f6e
	v_mov_b32_e32 v17, 0x3f2a01a0
	v_fmac_f64_e32 v[16:17], v[10:11], v[14:15]
	v_mov_b32_e32 v14, 0x1852b7b0
	v_mov_b32_e32 v15, 0x3f56c16c
	v_fmac_f64_e32 v[14:15], v[10:11], v[16:17]
	v_mov_b32_e32 v16, 0x11122322
	v_mov_b32_e32 v17, 0x3f811111
	v_fmac_f64_e32 v[16:17], v[10:11], v[14:15]
	v_mov_b32_e32 v14, 0x555502a1
	v_mov_b32_e32 v15, 0x3fa55555
	v_fmac_f64_e32 v[14:15], v[10:11], v[16:17]
	v_mov_b32_e32 v16, 0x55555511
	v_mov_b32_e32 v17, 0x3fc55555
	v_fmac_f64_e32 v[16:17], v[10:11], v[14:15]
	v_mov_b32_e32 v14, 11
	v_mov_b32_e32 v15, 0x3fe00000
	s_mov_b32 s16, 0
	v_fmac_f64_e32 v[14:15], v[10:11], v[16:17]
	s_mov_b32 s17, 0x40900000
	v_fma_f64 v[14:15], v[10:11], v[14:15], 1.0
	v_cmp_nlt_f64_e32 vcc, s[16:17], v[6:7]
	s_mov_b32 s16, 0
	v_fma_f64 v[10:11], v[10:11], v[14:15], 1.0
	v_cvt_i32_f64_e32 v4, v[8:9]
	s_mov_b32 s17, 0xc090cc00
	v_ldexp_f64 v[8:9], v[10:11], v4
	v_mov_b32_e32 v4, 0x7ff00000
	v_cmp_ngt_f64_e64 s[16:17], s[16:17], v[6:7]
	v_cndmask_b32_e32 v4, v4, v9, vcc
	s_and_b64 vcc, s[16:17], vcc
	v_cndmask_b32_e64 v7, 0, v4, s[16:17]
	v_cndmask_b32_e32 v6, 0, v8, vcc
	v_add_f64 v[0:1], v[0:1], v[6:7]
	s_or_b64 exec, exec, s[20:21]
	s_and_b64 s[12:13], s[12:13], s[10:11]
	s_and_saveexec_b64 s[16:17], s[12:13]
	s_cbranch_execnz .LBB2_25
	s_branch .LBB2_26
.LBB2_45:
	ds_read2_b64 v[6:9], v12 offset0:96 offset1:224
	v_add_u32_e32 v2, 0x800, v3
	ds_read2_b64 v[14:17], v2 offset0:128 offset1:160
	ds_read_b64 v[10:11], v5 offset:768
	ds_read_b64 v[18:19], v3 offset:3584
	s_waitcnt lgkmcnt(2)
	v_add_f64 v[8:9], v[8:9], -v[16:17]
	v_add_f64 v[6:7], v[6:7], -v[14:15]
	v_mul_f64 v[8:9], v[8:9], v[8:9]
	v_fmac_f64_e32 v[8:9], v[6:7], v[6:7]
	s_waitcnt lgkmcnt(0)
	v_add_f64 v[6:7], v[10:11], v[18:19]
	v_div_scale_f64 v[10:11], s[2:3], v[6:7], v[6:7], -v[8:9]
	v_rcp_f64_e32 v[14:15], v[10:11]
	s_mov_b32 s2, 0x652b82fe
	s_mov_b32 s3, 0x3ff71547
	v_fma_f64 v[16:17], -v[10:11], v[14:15], 1.0
	v_fmac_f64_e32 v[14:15], v[14:15], v[16:17]
	v_fma_f64 v[16:17], -v[10:11], v[14:15], 1.0
	v_fmac_f64_e32 v[14:15], v[14:15], v[16:17]
	v_div_scale_f64 v[16:17], vcc, -v[8:9], v[6:7], -v[8:9]
	v_mul_f64 v[18:19], v[16:17], v[14:15]
	v_fma_f64 v[10:11], -v[10:11], v[18:19], v[16:17]
	v_mov_b32_e32 v16, 0x623fde64
	s_nop 0
	v_div_fmas_f64 v[10:11], v[10:11], v[14:15], v[18:19]
	v_div_fixup_f64 v[6:7], v[10:11], v[6:7], -v[8:9]
	v_mul_f64 v[8:9], v[6:7], s[2:3]
	s_mov_b32 s2, 0xfefa39ef
	v_rndne_f64_e32 v[8:9], v[8:9]
	s_mov_b32 s3, 0xbfe62e42
	v_fma_f64 v[10:11], s[2:3], v[8:9], v[6:7]
	s_mov_b32 s2, 0x3b39803f
	s_mov_b32 s3, 0xbc7abc9e
	v_fmac_f64_e32 v[10:11], s[2:3], v[8:9]
	s_mov_b32 s2, 0x6a5dcb37
	v_mov_b32_e32 v14, 0xfca7ab0c
	v_mov_b32_e32 v15, 0x3e928af3
	s_mov_b32 s3, 0x3e5ade15
	v_fmac_f64_e32 v[14:15], s[2:3], v[10:11]
	v_mov_b32_e32 v17, 0x3ec71dee
	v_fmac_f64_e32 v[16:17], v[10:11], v[14:15]
	v_mov_b32_e32 v14, 0x7c89e6b0
	v_mov_b32_e32 v15, 0x3efa0199
	v_fmac_f64_e32 v[14:15], v[10:11], v[16:17]
	v_mov_b32_e32 v16, 0x14761f6e
	;; [unrolled: 3-line block ×7, first 2 shown]
	v_mov_b32_e32 v15, 0x3fe00000
	s_mov_b32 s2, 0
	v_fmac_f64_e32 v[14:15], v[10:11], v[16:17]
	s_mov_b32 s3, 0x40900000
	v_fma_f64 v[14:15], v[10:11], v[14:15], 1.0
	v_cmp_nlt_f64_e32 vcc, s[2:3], v[6:7]
	s_mov_b32 s2, 0
	v_fma_f64 v[10:11], v[10:11], v[14:15], 1.0
	v_cvt_i32_f64_e32 v2, v[8:9]
	s_mov_b32 s3, 0xc090cc00
	v_ldexp_f64 v[8:9], v[10:11], v2
	v_mov_b32_e32 v2, 0x7ff00000
	v_cmp_ngt_f64_e64 s[2:3], s[2:3], v[6:7]
	v_cndmask_b32_e32 v2, v2, v9, vcc
	s_and_b64 vcc, s[2:3], vcc
	v_cndmask_b32_e64 v7, 0, v2, s[2:3]
	v_cndmask_b32_e32 v6, 0, v8, vcc
	v_add_f64 v[0:1], v[0:1], v[6:7]
	s_or_b64 exec, exec, s[16:17]
	s_and_b64 s[2:3], s[12:13], s[14:15]
	s_and_saveexec_b64 s[14:15], s[2:3]
	s_cbranch_execz .LBB2_28
.LBB2_46:
	ds_read2_b64 v[6:9], v12 offset0:96 offset1:224
	v_add_u32_e32 v2, 0x800, v3
	ds_read2_b64 v[14:17], v2 offset0:136 offset1:168
	ds_read_b64 v[10:11], v5 offset:768
	ds_read_b64 v[18:19], v3 offset:3648
	s_waitcnt lgkmcnt(2)
	v_add_f64 v[8:9], v[8:9], -v[16:17]
	v_add_f64 v[6:7], v[6:7], -v[14:15]
	v_mul_f64 v[8:9], v[8:9], v[8:9]
	v_fmac_f64_e32 v[8:9], v[6:7], v[6:7]
	s_waitcnt lgkmcnt(0)
	v_add_f64 v[6:7], v[10:11], v[18:19]
	v_div_scale_f64 v[10:11], s[2:3], v[6:7], v[6:7], -v[8:9]
	v_rcp_f64_e32 v[14:15], v[10:11]
	s_mov_b32 s2, 0x652b82fe
	s_mov_b32 s3, 0x3ff71547
	v_fma_f64 v[16:17], -v[10:11], v[14:15], 1.0
	v_fmac_f64_e32 v[14:15], v[14:15], v[16:17]
	v_fma_f64 v[16:17], -v[10:11], v[14:15], 1.0
	v_fmac_f64_e32 v[14:15], v[14:15], v[16:17]
	v_div_scale_f64 v[16:17], vcc, -v[8:9], v[6:7], -v[8:9]
	v_mul_f64 v[18:19], v[16:17], v[14:15]
	v_fma_f64 v[10:11], -v[10:11], v[18:19], v[16:17]
	v_mov_b32_e32 v16, 0x623fde64
	s_nop 0
	v_div_fmas_f64 v[10:11], v[10:11], v[14:15], v[18:19]
	v_div_fixup_f64 v[6:7], v[10:11], v[6:7], -v[8:9]
	v_mul_f64 v[8:9], v[6:7], s[2:3]
	s_mov_b32 s2, 0xfefa39ef
	v_rndne_f64_e32 v[8:9], v[8:9]
	s_mov_b32 s3, 0xbfe62e42
	v_fma_f64 v[10:11], s[2:3], v[8:9], v[6:7]
	s_mov_b32 s2, 0x3b39803f
	s_mov_b32 s3, 0xbc7abc9e
	v_fmac_f64_e32 v[10:11], s[2:3], v[8:9]
	s_mov_b32 s2, 0x6a5dcb37
	v_mov_b32_e32 v14, 0xfca7ab0c
	v_mov_b32_e32 v15, 0x3e928af3
	s_mov_b32 s3, 0x3e5ade15
	v_fmac_f64_e32 v[14:15], s[2:3], v[10:11]
	v_mov_b32_e32 v17, 0x3ec71dee
	v_fmac_f64_e32 v[16:17], v[10:11], v[14:15]
	v_mov_b32_e32 v14, 0x7c89e6b0
	v_mov_b32_e32 v15, 0x3efa0199
	v_fmac_f64_e32 v[14:15], v[10:11], v[16:17]
	v_mov_b32_e32 v16, 0x14761f6e
	;; [unrolled: 3-line block ×7, first 2 shown]
	v_mov_b32_e32 v15, 0x3fe00000
	s_mov_b32 s2, 0
	v_fmac_f64_e32 v[14:15], v[10:11], v[16:17]
	s_mov_b32 s3, 0x40900000
	v_fma_f64 v[14:15], v[10:11], v[14:15], 1.0
	v_cmp_nlt_f64_e32 vcc, s[2:3], v[6:7]
	s_mov_b32 s2, 0
	v_fma_f64 v[10:11], v[10:11], v[14:15], 1.0
	v_cvt_i32_f64_e32 v2, v[8:9]
	s_mov_b32 s3, 0xc090cc00
	v_ldexp_f64 v[8:9], v[10:11], v2
	v_mov_b32_e32 v2, 0x7ff00000
	v_cmp_ngt_f64_e64 s[2:3], s[2:3], v[6:7]
	v_cndmask_b32_e32 v2, v2, v9, vcc
	s_and_b64 vcc, s[2:3], vcc
	v_cndmask_b32_e64 v7, 0, v2, s[2:3]
	v_cndmask_b32_e32 v6, 0, v8, vcc
	v_add_f64 v[0:1], v[0:1], v[6:7]
	s_or_b64 exec, exec, s[14:15]
	s_and_b64 s[2:3], s[12:13], s[8:9]
	s_and_saveexec_b64 s[8:9], s[2:3]
	s_cbranch_execnz .LBB2_29
	s_branch .LBB2_30
	.section	.rodata,"a",@progbits
	.p2align	6, 0x0
	.amdhsa_kernel _Z8distanceIdEvPKT_S2_iiS2_S2_PS0_
		.amdhsa_group_segment_fixed_size 3848
		.amdhsa_private_segment_fixed_size 0
		.amdhsa_kernarg_size 304
		.amdhsa_user_sgpr_count 6
		.amdhsa_user_sgpr_private_segment_buffer 1
		.amdhsa_user_sgpr_dispatch_ptr 0
		.amdhsa_user_sgpr_queue_ptr 0
		.amdhsa_user_sgpr_kernarg_segment_ptr 1
		.amdhsa_user_sgpr_dispatch_id 0
		.amdhsa_user_sgpr_flat_scratch_init 0
		.amdhsa_user_sgpr_kernarg_preload_length 0
		.amdhsa_user_sgpr_kernarg_preload_offset 0
		.amdhsa_user_sgpr_private_segment_size 0
		.amdhsa_uses_dynamic_stack 0
		.amdhsa_system_sgpr_private_segment_wavefront_offset 0
		.amdhsa_system_sgpr_workgroup_id_x 1
		.amdhsa_system_sgpr_workgroup_id_y 1
		.amdhsa_system_sgpr_workgroup_id_z 0
		.amdhsa_system_sgpr_workgroup_info 0
		.amdhsa_system_vgpr_workitem_id 1
		.amdhsa_next_free_vgpr 22
		.amdhsa_next_free_sgpr 22
		.amdhsa_accum_offset 24
		.amdhsa_reserve_vcc 1
		.amdhsa_reserve_flat_scratch 0
		.amdhsa_float_round_mode_32 0
		.amdhsa_float_round_mode_16_64 0
		.amdhsa_float_denorm_mode_32 3
		.amdhsa_float_denorm_mode_16_64 3
		.amdhsa_dx10_clamp 1
		.amdhsa_ieee_mode 1
		.amdhsa_fp16_overflow 0
		.amdhsa_tg_split 0
		.amdhsa_exception_fp_ieee_invalid_op 0
		.amdhsa_exception_fp_denorm_src 0
		.amdhsa_exception_fp_ieee_div_zero 0
		.amdhsa_exception_fp_ieee_overflow 0
		.amdhsa_exception_fp_ieee_underflow 0
		.amdhsa_exception_fp_ieee_inexact 0
		.amdhsa_exception_int_div_zero 0
	.end_amdhsa_kernel
	.section	.text._Z8distanceIdEvPKT_S2_iiS2_S2_PS0_,"axG",@progbits,_Z8distanceIdEvPKT_S2_iiS2_S2_PS0_,comdat
.Lfunc_end2:
	.size	_Z8distanceIdEvPKT_S2_iiS2_S2_PS0_, .Lfunc_end2-_Z8distanceIdEvPKT_S2_iiS2_S2_PS0_
                                        ; -- End function
	.section	.AMDGPU.csdata,"",@progbits
; Kernel info:
; codeLenInByte = 9820
; NumSgprs: 26
; NumVgprs: 22
; NumAgprs: 0
; TotalNumVgprs: 22
; ScratchSize: 0
; MemoryBound: 0
; FloatMode: 240
; IeeeMode: 1
; LDSByteSize: 3848 bytes/workgroup (compile time only)
; SGPRBlocks: 3
; VGPRBlocks: 2
; NumSGPRsForWavesPerEU: 26
; NumVGPRsForWavesPerEU: 22
; AccumOffset: 24
; Occupancy: 8
; WaveLimiterHint : 1
; COMPUTE_PGM_RSRC2:SCRATCH_EN: 0
; COMPUTE_PGM_RSRC2:USER_SGPR: 6
; COMPUTE_PGM_RSRC2:TRAP_HANDLER: 0
; COMPUTE_PGM_RSRC2:TGID_X_EN: 1
; COMPUTE_PGM_RSRC2:TGID_Y_EN: 1
; COMPUTE_PGM_RSRC2:TGID_Z_EN: 0
; COMPUTE_PGM_RSRC2:TIDIG_COMP_CNT: 1
; COMPUTE_PGM_RSRC3_GFX90A:ACCUM_OFFSET: 5
; COMPUTE_PGM_RSRC3_GFX90A:TG_SPLIT: 0
	.section	.text._Z17reduce_cross_termIdEvPT_PKS0_iii,"axG",@progbits,_Z17reduce_cross_termIdEvPT_PKS0_iii,comdat
	.protected	_Z17reduce_cross_termIdEvPT_PKS0_iii ; -- Begin function _Z17reduce_cross_termIdEvPT_PKS0_iii
	.globl	_Z17reduce_cross_termIdEvPT_PKS0_iii
	.p2align	8
	.type	_Z17reduce_cross_termIdEvPT_PKS0_iii,@function
_Z17reduce_cross_termIdEvPT_PKS0_iii:   ; @_Z17reduce_cross_termIdEvPT_PKS0_iii
; %bb.0:
	v_cmp_eq_u32_e64 s[0:1], 0, v0
	s_and_saveexec_b64 s[2:3], s[0:1]
	s_cbranch_execz .LBB3_2
; %bb.1:
	v_mov_b32_e32 v2, 0
	v_mov_b32_e32 v3, v2
	ds_write_b64 v2, v[2:3]
.LBB3_2:
	s_or_b64 exec, exec, s[2:3]
	s_load_dword s8, s[4:5], 0x18
	s_load_dwordx2 s[2:3], s[4:5], 0x0
	v_pk_mov_b32 v[2:3], 0, 0
	s_waitcnt lgkmcnt(0)
	s_barrier
	v_cmp_gt_i32_e32 vcc, s8, v0
	s_and_saveexec_b64 s[6:7], vcc
	s_cbranch_execz .LBB3_6
; %bb.3:
	s_load_dwordx2 s[4:5], s[4:5], 0x8
	v_lshlrev_b32_e32 v1, 3, v0
	s_waitcnt lgkmcnt(0)
	v_mov_b32_e32 v2, s5
	v_add_co_u32_e32 v4, vcc, s4, v1
	v_addc_co_u32_e32 v5, vcc, 0, v2, vcc
	s_mov_b64 s[4:5], 0
	v_pk_mov_b32 v[2:3], 0, 0
.LBB3_4:                                ; =>This Inner Loop Header: Depth=1
	global_load_dwordx2 v[6:7], v[4:5], off
	v_add_co_u32_e32 v4, vcc, 0x800, v4
	v_add_u32_e32 v0, 0x100, v0
	v_addc_co_u32_e32 v5, vcc, 0, v5, vcc
	v_cmp_le_i32_e32 vcc, s8, v0
	s_or_b64 s[4:5], vcc, s[4:5]
	s_waitcnt vmcnt(0)
	v_add_f64 v[2:3], v[2:3], v[6:7]
	s_andn2_b64 exec, exec, s[4:5]
	s_cbranch_execnz .LBB3_4
; %bb.5:
	s_or_b64 exec, exec, s[4:5]
.LBB3_6:
	s_or_b64 exec, exec, s[6:7]
	v_mov_b32_e32 v0, 0
	s_mov_b64 s[4:5], exec
	v_bfrev_b32_e32 v1, 1
.LBB3_7:                                ; =>This Inner Loop Header: Depth=1
	s_ff1_i32_b64 s8, s[4:5]
	v_readlane_b32 s7, v3, s8
	v_readlane_b32 s6, v2, s8
	s_lshl_b64 s[8:9], 1, s8
	s_andn2_b64 s[4:5], s[4:5], s[8:9]
	s_cmp_lg_u64 s[4:5], 0
	v_add_f64 v[0:1], v[0:1], s[6:7]
	s_cbranch_scc1 .LBB3_7
; %bb.8:
	v_mbcnt_lo_u32_b32 v2, exec_lo, 0
	v_mbcnt_hi_u32_b32 v2, exec_hi, v2
	v_cmp_eq_u32_e32 vcc, 0, v2
	s_and_saveexec_b64 s[4:5], vcc
	s_xor_b64 s[4:5], exec, s[4:5]
	s_cbranch_execz .LBB3_10
; %bb.9:
	v_mov_b32_e32 v2, 0
	ds_add_f64 v2, v[0:1]
.LBB3_10:
	s_or_b64 exec, exec, s[4:5]
	s_waitcnt lgkmcnt(0)
	s_barrier
	s_and_saveexec_b64 s[4:5], s[0:1]
	s_cbranch_execz .LBB3_12
; %bb.11:
	v_mov_b32_e32 v2, 0
	ds_read_b64 v[0:1], v2
	s_waitcnt lgkmcnt(0)
	global_store_dwordx2 v2, v[0:1], s[2:3]
.LBB3_12:
	s_endpgm
	.section	.rodata,"a",@progbits
	.p2align	6, 0x0
	.amdhsa_kernel _Z17reduce_cross_termIdEvPT_PKS0_iii
		.amdhsa_group_segment_fixed_size 8
		.amdhsa_private_segment_fixed_size 0
		.amdhsa_kernarg_size 28
		.amdhsa_user_sgpr_count 6
		.amdhsa_user_sgpr_private_segment_buffer 1
		.amdhsa_user_sgpr_dispatch_ptr 0
		.amdhsa_user_sgpr_queue_ptr 0
		.amdhsa_user_sgpr_kernarg_segment_ptr 1
		.amdhsa_user_sgpr_dispatch_id 0
		.amdhsa_user_sgpr_flat_scratch_init 0
		.amdhsa_user_sgpr_kernarg_preload_length 0
		.amdhsa_user_sgpr_kernarg_preload_offset 0
		.amdhsa_user_sgpr_private_segment_size 0
		.amdhsa_uses_dynamic_stack 0
		.amdhsa_system_sgpr_private_segment_wavefront_offset 0
		.amdhsa_system_sgpr_workgroup_id_x 1
		.amdhsa_system_sgpr_workgroup_id_y 0
		.amdhsa_system_sgpr_workgroup_id_z 0
		.amdhsa_system_sgpr_workgroup_info 0
		.amdhsa_system_vgpr_workitem_id 0
		.amdhsa_next_free_vgpr 8
		.amdhsa_next_free_sgpr 10
		.amdhsa_accum_offset 8
		.amdhsa_reserve_vcc 1
		.amdhsa_reserve_flat_scratch 0
		.amdhsa_float_round_mode_32 0
		.amdhsa_float_round_mode_16_64 0
		.amdhsa_float_denorm_mode_32 3
		.amdhsa_float_denorm_mode_16_64 3
		.amdhsa_dx10_clamp 1
		.amdhsa_ieee_mode 1
		.amdhsa_fp16_overflow 0
		.amdhsa_tg_split 0
		.amdhsa_exception_fp_ieee_invalid_op 0
		.amdhsa_exception_fp_denorm_src 0
		.amdhsa_exception_fp_ieee_div_zero 0
		.amdhsa_exception_fp_ieee_overflow 0
		.amdhsa_exception_fp_ieee_underflow 0
		.amdhsa_exception_fp_ieee_inexact 0
		.amdhsa_exception_int_div_zero 0
	.end_amdhsa_kernel
	.section	.text._Z17reduce_cross_termIdEvPT_PKS0_iii,"axG",@progbits,_Z17reduce_cross_termIdEvPT_PKS0_iii,comdat
.Lfunc_end3:
	.size	_Z17reduce_cross_termIdEvPT_PKS0_iii, .Lfunc_end3-_Z17reduce_cross_termIdEvPT_PKS0_iii
                                        ; -- End function
	.section	.AMDGPU.csdata,"",@progbits
; Kernel info:
; codeLenInByte = 332
; NumSgprs: 14
; NumVgprs: 8
; NumAgprs: 0
; TotalNumVgprs: 8
; ScratchSize: 0
; MemoryBound: 0
; FloatMode: 240
; IeeeMode: 1
; LDSByteSize: 8 bytes/workgroup (compile time only)
; SGPRBlocks: 1
; VGPRBlocks: 0
; NumSGPRsForWavesPerEU: 14
; NumVGPRsForWavesPerEU: 8
; AccumOffset: 8
; Occupancy: 8
; WaveLimiterHint : 0
; COMPUTE_PGM_RSRC2:SCRATCH_EN: 0
; COMPUTE_PGM_RSRC2:USER_SGPR: 6
; COMPUTE_PGM_RSRC2:TRAP_HANDLER: 0
; COMPUTE_PGM_RSRC2:TGID_X_EN: 1
; COMPUTE_PGM_RSRC2:TGID_Y_EN: 0
; COMPUTE_PGM_RSRC2:TGID_Z_EN: 0
; COMPUTE_PGM_RSRC2:TIDIG_COMP_CNT: 0
; COMPUTE_PGM_RSRC3_GFX90A:ACCUM_OFFSET: 1
; COMPUTE_PGM_RSRC3_GFX90A:TG_SPLIT: 0
	.text
	.p2alignl 6, 3212836864
	.fill 256, 4, 3212836864
	.type	__hip_cuid_c76cde722c95c1b1,@object ; @__hip_cuid_c76cde722c95c1b1
	.section	.bss,"aw",@nobits
	.globl	__hip_cuid_c76cde722c95c1b1
__hip_cuid_c76cde722c95c1b1:
	.byte	0                               ; 0x0
	.size	__hip_cuid_c76cde722c95c1b1, 1

	.ident	"AMD clang version 19.0.0git (https://github.com/RadeonOpenCompute/llvm-project roc-6.4.0 25133 c7fe45cf4b819c5991fe208aaa96edf142730f1d)"
	.section	".note.GNU-stack","",@progbits
	.addrsig
	.addrsig_sym __hip_cuid_c76cde722c95c1b1
	.amdgpu_metadata
---
amdhsa.kernels:
  - .agpr_count:     0
    .args:
      - .actual_access:  read_only
        .address_space:  global
        .offset:         0
        .size:           8
        .value_kind:     global_buffer
      - .actual_access:  read_only
        .address_space:  global
        .offset:         8
        .size:           8
        .value_kind:     global_buffer
      - .offset:         16
        .size:           4
        .value_kind:     by_value
      - .offset:         20
        .size:           4
        .value_kind:     by_value
      - .actual_access:  read_only
        .address_space:  global
        .offset:         24
        .size:           8
        .value_kind:     global_buffer
      - .actual_access:  read_only
        .address_space:  global
        .offset:         32
        .size:           8
        .value_kind:     global_buffer
      - .actual_access:  write_only
        .address_space:  global
        .offset:         40
        .size:           8
        .value_kind:     global_buffer
      - .offset:         48
        .size:           4
        .value_kind:     hidden_block_count_x
      - .offset:         52
        .size:           4
        .value_kind:     hidden_block_count_y
      - .offset:         56
        .size:           4
        .value_kind:     hidden_block_count_z
      - .offset:         60
        .size:           2
        .value_kind:     hidden_group_size_x
      - .offset:         62
        .size:           2
        .value_kind:     hidden_group_size_y
      - .offset:         64
        .size:           2
        .value_kind:     hidden_group_size_z
      - .offset:         66
        .size:           2
        .value_kind:     hidden_remainder_x
      - .offset:         68
        .size:           2
        .value_kind:     hidden_remainder_y
      - .offset:         70
        .size:           2
        .value_kind:     hidden_remainder_z
      - .offset:         88
        .size:           8
        .value_kind:     hidden_global_offset_x
      - .offset:         96
        .size:           8
        .value_kind:     hidden_global_offset_y
      - .offset:         104
        .size:           8
        .value_kind:     hidden_global_offset_z
      - .offset:         112
        .size:           2
        .value_kind:     hidden_grid_dims
    .group_segment_fixed_size: 1924
    .kernarg_segment_align: 8
    .kernarg_segment_size: 304
    .language:       OpenCL C
    .language_version:
      - 2
      - 0
    .max_flat_workgroup_size: 1024
    .name:           _Z8distanceIfEvPKT_S2_iiS2_S2_PS0_
    .private_segment_fixed_size: 0
    .sgpr_count:     26
    .sgpr_spill_count: 0
    .symbol:         _Z8distanceIfEvPKT_S2_iiS2_S2_PS0_.kd
    .uniform_work_group_size: 1
    .uses_dynamic_stack: false
    .vgpr_count:     17
    .vgpr_spill_count: 0
    .wavefront_size: 64
  - .agpr_count:     0
    .args:
      - .actual_access:  write_only
        .address_space:  global
        .offset:         0
        .size:           8
        .value_kind:     global_buffer
      - .actual_access:  read_only
        .address_space:  global
        .offset:         8
        .size:           8
        .value_kind:     global_buffer
      - .offset:         16
        .size:           4
        .value_kind:     by_value
      - .offset:         20
        .size:           4
        .value_kind:     by_value
      - .offset:         24
        .size:           4
        .value_kind:     by_value
    .group_segment_fixed_size: 4
    .kernarg_segment_align: 8
    .kernarg_segment_size: 28
    .language:       OpenCL C
    .language_version:
      - 2
      - 0
    .max_flat_workgroup_size: 1024
    .name:           _Z17reduce_cross_termIfEvPT_PKS0_iii
    .private_segment_fixed_size: 0
    .sgpr_count:     13
    .sgpr_spill_count: 0
    .symbol:         _Z17reduce_cross_termIfEvPT_PKS0_iii.kd
    .uniform_work_group_size: 1
    .uses_dynamic_stack: false
    .vgpr_count:     5
    .vgpr_spill_count: 0
    .wavefront_size: 64
  - .agpr_count:     0
    .args:
      - .actual_access:  read_only
        .address_space:  global
        .offset:         0
        .size:           8
        .value_kind:     global_buffer
      - .actual_access:  read_only
        .address_space:  global
        .offset:         8
        .size:           8
        .value_kind:     global_buffer
      - .offset:         16
        .size:           4
        .value_kind:     by_value
      - .offset:         20
        .size:           4
        .value_kind:     by_value
      - .actual_access:  read_only
        .address_space:  global
        .offset:         24
        .size:           8
        .value_kind:     global_buffer
      - .actual_access:  read_only
        .address_space:  global
        .offset:         32
        .size:           8
        .value_kind:     global_buffer
      - .actual_access:  write_only
        .address_space:  global
        .offset:         40
        .size:           8
        .value_kind:     global_buffer
      - .offset:         48
        .size:           4
        .value_kind:     hidden_block_count_x
      - .offset:         52
        .size:           4
        .value_kind:     hidden_block_count_y
      - .offset:         56
        .size:           4
        .value_kind:     hidden_block_count_z
      - .offset:         60
        .size:           2
        .value_kind:     hidden_group_size_x
      - .offset:         62
        .size:           2
        .value_kind:     hidden_group_size_y
      - .offset:         64
        .size:           2
        .value_kind:     hidden_group_size_z
      - .offset:         66
        .size:           2
        .value_kind:     hidden_remainder_x
      - .offset:         68
        .size:           2
        .value_kind:     hidden_remainder_y
      - .offset:         70
        .size:           2
        .value_kind:     hidden_remainder_z
      - .offset:         88
        .size:           8
        .value_kind:     hidden_global_offset_x
      - .offset:         96
        .size:           8
        .value_kind:     hidden_global_offset_y
      - .offset:         104
        .size:           8
        .value_kind:     hidden_global_offset_z
      - .offset:         112
        .size:           2
        .value_kind:     hidden_grid_dims
    .group_segment_fixed_size: 3848
    .kernarg_segment_align: 8
    .kernarg_segment_size: 304
    .language:       OpenCL C
    .language_version:
      - 2
      - 0
    .max_flat_workgroup_size: 1024
    .name:           _Z8distanceIdEvPKT_S2_iiS2_S2_PS0_
    .private_segment_fixed_size: 0
    .sgpr_count:     26
    .sgpr_spill_count: 0
    .symbol:         _Z8distanceIdEvPKT_S2_iiS2_S2_PS0_.kd
    .uniform_work_group_size: 1
    .uses_dynamic_stack: false
    .vgpr_count:     22
    .vgpr_spill_count: 0
    .wavefront_size: 64
  - .agpr_count:     0
    .args:
      - .actual_access:  write_only
        .address_space:  global
        .offset:         0
        .size:           8
        .value_kind:     global_buffer
      - .actual_access:  read_only
        .address_space:  global
        .offset:         8
        .size:           8
        .value_kind:     global_buffer
      - .offset:         16
        .size:           4
        .value_kind:     by_value
      - .offset:         20
        .size:           4
        .value_kind:     by_value
      - .offset:         24
        .size:           4
        .value_kind:     by_value
    .group_segment_fixed_size: 8
    .kernarg_segment_align: 8
    .kernarg_segment_size: 28
    .language:       OpenCL C
    .language_version:
      - 2
      - 0
    .max_flat_workgroup_size: 1024
    .name:           _Z17reduce_cross_termIdEvPT_PKS0_iii
    .private_segment_fixed_size: 0
    .sgpr_count:     14
    .sgpr_spill_count: 0
    .symbol:         _Z17reduce_cross_termIdEvPT_PKS0_iii.kd
    .uniform_work_group_size: 1
    .uses_dynamic_stack: false
    .vgpr_count:     8
    .vgpr_spill_count: 0
    .wavefront_size: 64
amdhsa.target:   amdgcn-amd-amdhsa--gfx90a
amdhsa.version:
  - 1
  - 2
...

	.end_amdgpu_metadata
